;; amdgpu-corpus repo=ROCm/rocFFT kind=compiled arch=gfx1100 opt=O3
	.text
	.amdgcn_target "amdgcn-amd-amdhsa--gfx1100"
	.amdhsa_code_object_version 6
	.protected	bluestein_single_back_len572_dim1_dp_op_CI_CI ; -- Begin function bluestein_single_back_len572_dim1_dp_op_CI_CI
	.globl	bluestein_single_back_len572_dim1_dp_op_CI_CI
	.p2align	8
	.type	bluestein_single_back_len572_dim1_dp_op_CI_CI,@function
bluestein_single_back_len572_dim1_dp_op_CI_CI: ; @bluestein_single_back_len572_dim1_dp_op_CI_CI
; %bb.0:
	s_load_b128 s[4:7], s[0:1], 0x28
	v_mul_u32_u24_e32 v1, 0x4ed, v0
	s_mov_b32 s2, exec_lo
	v_mov_b32_e32 v133, 0
	s_delay_alu instid0(VALU_DEP_2) | instskip(NEXT) | instid1(VALU_DEP_1)
	v_lshrrev_b32_e32 v1, 16, v1
	v_add_nc_u32_e32 v132, s15, v1
	s_waitcnt lgkmcnt(0)
	s_delay_alu instid0(VALU_DEP_1)
	v_cmpx_gt_u64_e64 s[4:5], v[132:133]
	s_cbranch_execz .LBB0_23
; %bb.1:
	s_clause 0x1
	s_load_b64 s[14:15], s[0:1], 0x0
	s_load_b64 s[12:13], s[0:1], 0x38
	v_mul_lo_u16 v1, v1, 52
	s_delay_alu instid0(VALU_DEP_1) | instskip(NEXT) | instid1(VALU_DEP_1)
	v_sub_nc_u16 v0, v0, v1
	v_and_b32_e32 v206, 0xffff, v0
	v_cmp_gt_u16_e32 vcc_lo, 44, v0
	s_delay_alu instid0(VALU_DEP_2)
	v_lshlrev_b32_e32 v205, 4, v206
	s_and_saveexec_b32 s3, vcc_lo
	s_cbranch_execz .LBB0_3
; %bb.2:
	s_load_b64 s[4:5], s[0:1], 0x18
	s_waitcnt lgkmcnt(0)
	v_add_co_u32 v30, s2, s14, v205
	s_delay_alu instid0(VALU_DEP_1) | instskip(SKIP_2) | instid1(VALU_DEP_1)
	v_add_co_ci_u32_e64 v31, null, s15, 0, s2
	global_load_b128 v[0:3], v205, s[14:15]
	v_add_co_u32 v88, s2, 0x1000, v30
	v_add_co_ci_u32_e64 v89, s2, 0, v31, s2
	v_add_co_u32 v96, s2, 0x2000, v30
	s_delay_alu instid0(VALU_DEP_1)
	v_add_co_ci_u32_e64 v97, s2, 0, v31, s2
	s_load_b128 s[8:11], s[4:5], 0x0
	s_waitcnt lgkmcnt(0)
	v_mad_u64_u32 v[24:25], null, s10, v132, 0
	v_mad_u64_u32 v[26:27], null, s8, v206, 0
	s_mul_i32 s4, s9, 0x2c0
	s_mul_hi_u32 s5, s8, 0x2c0
	s_delay_alu instid0(SALU_CYCLE_1) | instskip(NEXT) | instid1(VALU_DEP_2)
	s_add_i32 s5, s5, s4
	v_mov_b32_e32 v4, v25
	s_delay_alu instid0(VALU_DEP_2) | instskip(NEXT) | instid1(VALU_DEP_2)
	v_mov_b32_e32 v12, v27
	v_mad_u64_u32 v[27:28], null, s11, v132, v[4:5]
	s_delay_alu instid0(VALU_DEP_2)
	v_mad_u64_u32 v[28:29], null, s9, v206, v[12:13]
	s_clause 0x4
	global_load_b128 v[4:7], v205, s[14:15] offset:704
	global_load_b128 v[8:11], v205, s[14:15] offset:1408
	;; [unrolled: 1-line block ×5, first 2 shown]
	v_mov_b32_e32 v25, v27
	v_mov_b32_e32 v27, v28
	s_delay_alu instid0(VALU_DEP_2) | instskip(NEXT) | instid1(VALU_DEP_2)
	v_lshlrev_b64 v[24:25], 4, v[24:25]
	v_lshlrev_b64 v[26:27], 4, v[26:27]
	s_delay_alu instid0(VALU_DEP_2) | instskip(NEXT) | instid1(VALU_DEP_1)
	v_add_co_u32 v24, s2, s6, v24
	v_add_co_ci_u32_e64 v25, s2, s7, v25, s2
	s_mul_i32 s6, s8, 0x2c0
	s_delay_alu instid0(VALU_DEP_2) | instskip(NEXT) | instid1(VALU_DEP_1)
	v_add_co_u32 v40, s2, v24, v26
	v_add_co_ci_u32_e64 v41, s2, v25, v27, s2
	s_clause 0x1
	global_load_b128 v[24:27], v[88:89], off offset:128
	global_load_b128 v[28:31], v[88:89], off offset:832
	v_add_co_u32 v44, s2, v40, s6
	s_delay_alu instid0(VALU_DEP_1) | instskip(SKIP_4) | instid1(VALU_DEP_1)
	v_add_co_ci_u32_e64 v45, s2, s5, v41, s2
	s_clause 0x1
	global_load_b128 v[32:35], v[88:89], off offset:1536
	global_load_b128 v[36:39], v[88:89], off offset:2240
	v_add_co_u32 v48, s2, v44, s6
	v_add_co_ci_u32_e64 v49, s2, s5, v45, s2
	s_clause 0x1
	global_load_b128 v[40:43], v[40:41], off
	global_load_b128 v[44:47], v[44:45], off
	v_add_co_u32 v52, s2, v48, s6
	s_delay_alu instid0(VALU_DEP_1) | instskip(NEXT) | instid1(VALU_DEP_2)
	v_add_co_ci_u32_e64 v53, s2, s5, v49, s2
	v_add_co_u32 v56, s2, v52, s6
	s_delay_alu instid0(VALU_DEP_1) | instskip(SKIP_4) | instid1(VALU_DEP_1)
	v_add_co_ci_u32_e64 v57, s2, s5, v53, s2
	s_clause 0x1
	global_load_b128 v[48:51], v[48:49], off
	global_load_b128 v[52:55], v[52:53], off
	v_add_co_u32 v60, s2, v56, s6
	v_add_co_ci_u32_e64 v61, s2, s5, v57, s2
	global_load_b128 v[56:59], v[56:57], off
	v_add_co_u32 v64, s2, v60, s6
	s_delay_alu instid0(VALU_DEP_1) | instskip(SKIP_2) | instid1(VALU_DEP_1)
	v_add_co_ci_u32_e64 v65, s2, s5, v61, s2
	global_load_b128 v[60:63], v[60:61], off
	v_add_co_u32 v68, s2, v64, s6
	v_add_co_ci_u32_e64 v69, s2, s5, v65, s2
	global_load_b128 v[64:67], v[64:65], off
	v_add_co_u32 v72, s2, v68, s6
	s_delay_alu instid0(VALU_DEP_1) | instskip(SKIP_2) | instid1(VALU_DEP_1)
	v_add_co_ci_u32_e64 v73, s2, s5, v69, s2
	;; [unrolled: 7-line block ×3, first 2 shown]
	global_load_b128 v[76:79], v[76:77], off
	v_add_co_u32 v92, s2, v80, s6
	v_add_co_ci_u32_e64 v93, s2, s5, v81, s2
	global_load_b128 v[80:83], v[80:81], off
	v_add_co_u32 v100, s2, v92, s6
	s_delay_alu instid0(VALU_DEP_1)
	v_add_co_ci_u32_e64 v101, s2, s5, v93, s2
	s_clause 0x1
	global_load_b128 v[84:87], v[88:89], off offset:2944
	global_load_b128 v[88:91], v[88:89], off offset:3648
	global_load_b128 v[92:95], v[92:93], off
	global_load_b128 v[96:99], v[96:97], off offset:256
	global_load_b128 v[100:103], v[100:101], off
	s_waitcnt vmcnt(15)
	v_mul_f64 v[104:105], v[42:43], v[2:3]
	v_mul_f64 v[2:3], v[40:41], v[2:3]
	s_waitcnt vmcnt(14)
	v_mul_f64 v[106:107], v[46:47], v[6:7]
	v_mul_f64 v[6:7], v[44:45], v[6:7]
	s_waitcnt vmcnt(13)
	v_mul_f64 v[108:109], v[50:51], v[10:11]
	v_mul_f64 v[10:11], v[48:49], v[10:11]
	s_waitcnt vmcnt(12)
	v_mul_f64 v[110:111], v[54:55], v[14:15]
	v_mul_f64 v[14:15], v[52:53], v[14:15]
	s_waitcnt vmcnt(11)
	v_mul_f64 v[112:113], v[58:59], v[18:19]
	v_mul_f64 v[18:19], v[56:57], v[18:19]
	s_waitcnt vmcnt(10)
	v_mul_f64 v[114:115], v[62:63], v[22:23]
	v_mul_f64 v[22:23], v[60:61], v[22:23]
	s_waitcnt vmcnt(9)
	v_mul_f64 v[116:117], v[66:67], v[26:27]
	v_mul_f64 v[26:27], v[64:65], v[26:27]
	s_waitcnt vmcnt(8)
	v_mul_f64 v[118:119], v[70:71], v[30:31]
	v_mul_f64 v[30:31], v[68:69], v[30:31]
	s_waitcnt vmcnt(7)
	v_mul_f64 v[120:121], v[74:75], v[34:35]
	v_mul_f64 v[34:35], v[72:73], v[34:35]
	s_waitcnt vmcnt(6)
	v_mul_f64 v[122:123], v[78:79], v[38:39]
	v_mul_f64 v[124:125], v[76:77], v[38:39]
	v_fma_f64 v[38:39], v[40:41], v[0:1], v[104:105]
	v_fma_f64 v[40:41], v[42:43], v[0:1], -v[2:3]
	v_fma_f64 v[0:1], v[44:45], v[4:5], v[106:107]
	v_fma_f64 v[2:3], v[46:47], v[4:5], -v[6:7]
	s_waitcnt vmcnt(4)
	v_mul_f64 v[126:127], v[82:83], v[86:87]
	v_mul_f64 v[86:87], v[80:81], v[86:87]
	s_waitcnt vmcnt(2)
	v_mul_f64 v[128:129], v[94:95], v[90:91]
	v_mul_f64 v[90:91], v[92:93], v[90:91]
	;; [unrolled: 3-line block ×3, first 2 shown]
	v_fma_f64 v[4:5], v[48:49], v[8:9], v[108:109]
	v_fma_f64 v[6:7], v[50:51], v[8:9], -v[10:11]
	v_fma_f64 v[8:9], v[52:53], v[12:13], v[110:111]
	v_fma_f64 v[10:11], v[54:55], v[12:13], -v[14:15]
	;; [unrolled: 2-line block ×11, first 2 shown]
	ds_store_b128 v205, v[38:41]
	ds_store_b128 v205, v[0:3] offset:704
	ds_store_b128 v205, v[4:7] offset:1408
	;; [unrolled: 1-line block ×12, first 2 shown]
.LBB0_3:
	s_or_b32 exec_lo, exec_lo, s3
	s_clause 0x1
	s_load_b64 s[4:5], s[0:1], 0x20
	s_load_b64 s[2:3], s[0:1], 0x8
	s_waitcnt lgkmcnt(0)
	s_barrier
	buffer_gl0_inv
                                        ; implicit-def: $vgpr12_vgpr13
                                        ; implicit-def: $vgpr44_vgpr45
                                        ; implicit-def: $vgpr40_vgpr41
                                        ; implicit-def: $vgpr28_vgpr29
                                        ; implicit-def: $vgpr24_vgpr25
                                        ; implicit-def: $vgpr8_vgpr9
                                        ; implicit-def: $vgpr4_vgpr5
                                        ; implicit-def: $vgpr16_vgpr17
                                        ; implicit-def: $vgpr20_vgpr21
                                        ; implicit-def: $vgpr32_vgpr33
                                        ; implicit-def: $vgpr36_vgpr37
                                        ; implicit-def: $vgpr52_vgpr53
                                        ; implicit-def: $vgpr48_vgpr49
	s_and_saveexec_b32 s0, vcc_lo
	s_cbranch_execz .LBB0_5
; %bb.4:
	ds_load_b128 v[12:15], v205
	ds_load_b128 v[48:51], v205 offset:704
	ds_load_b128 v[52:55], v205 offset:1408
	;; [unrolled: 1-line block ×12, first 2 shown]
.LBB0_5:
	s_or_b32 exec_lo, exec_lo, s0
	s_waitcnt lgkmcnt(0)
	v_add_f64 v[151:152], v[50:51], -v[6:7]
	v_add_f64 v[76:77], v[48:49], -v[4:5]
	s_mov_b32 s8, 0x4267c47c
	s_mov_b32 s6, 0x42a4c3d2
	s_mov_b32 s9, 0xbfddbe06
	s_mov_b32 s7, 0xbfea55e2
	v_add_f64 v[74:75], v[4:5], v[48:49]
	v_add_f64 v[153:154], v[6:7], v[50:51]
	v_add_f64 v[141:142], v[54:55], -v[10:11]
	v_add_f64 v[88:89], v[52:53], -v[8:9]
	s_mov_b32 s16, 0xe00740e9
	s_mov_b32 s0, 0x1ea71119
	s_mov_b32 s10, 0x2ef20147
	s_mov_b32 s17, 0x3fec55a7
	s_mov_b32 s1, 0x3fe22d96
	s_mov_b32 s11, 0xbfedeba7
	v_add_f64 v[68:69], v[8:9], v[52:53]
	v_add_f64 v[145:146], v[10:11], v[54:55]
	v_add_f64 v[102:103], v[46:47], -v[18:19]
	v_add_f64 v[118:119], v[44:45], -v[16:17]
	s_mov_b32 s18, 0xb2365da1
	s_mov_b32 s26, 0x66966769
	;; [unrolled: 10-line block ×3, first 2 shown]
	s_mov_b32 s22, 0x24c2f84
	s_mov_b32 s35, 0x3fbedb7d
	;; [unrolled: 1-line block ×4, first 2 shown]
	v_add_f64 v[60:61], v[40:41], v[20:21]
	v_add_f64 v[155:156], v[42:43], v[22:23]
	v_mul_f64 v[106:107], v[151:152], s[8:9]
	v_mul_f64 v[108:109], v[76:77], s[8:9]
	;; [unrolled: 1-line block ×4, first 2 shown]
	v_add_f64 v[116:117], v[38:39], -v[26:27]
	s_mov_b32 s28, 0xd0032e0c
	s_mov_b32 s29, 0xbfe7f3cc
	;; [unrolled: 1-line block ×3, first 2 shown]
	v_mul_f64 v[86:87], v[141:142], s[6:7]
	v_mul_f64 v[98:99], v[88:89], s[6:7]
	;; [unrolled: 1-line block ×4, first 2 shown]
	s_mov_b32 s37, 0x3fefc445
	s_mov_b32 s30, s22
	s_mov_b32 s36, s26
	v_add_f64 v[124:125], v[26:27], v[38:39]
	v_add_f64 v[128:129], v[34:35], -v[30:31]
	s_mov_b32 s39, 0x3fddbe06
	v_mul_f64 v[120:121], v[102:103], s[26:27]
	v_mul_f64 v[122:123], v[118:119], s[26:27]
	;; [unrolled: 1-line block ×4, first 2 shown]
	s_mov_b32 s38, s8
	v_mul_lo_u16 v207, v206, 13
	s_barrier
	buffer_gl0_inv
	v_mul_f64 v[139:140], v[133:134], s[10:11]
	v_mul_f64 v[135:136], v[90:91], s[10:11]
	;; [unrolled: 1-line block ×4, first 2 shown]
	v_fma_f64 v[0:1], v[74:75], s[16:17], v[106:107]
	v_fma_f64 v[2:3], v[153:154], s[16:17], -v[108:109]
	v_fma_f64 v[56:57], v[74:75], s[0:1], v[110:111]
	v_fma_f64 v[58:59], v[153:154], s[0:1], -v[114:115]
	v_mul_f64 v[92:93], v[116:117], s[30:31]
	v_mul_f64 v[96:97], v[116:117], s[36:37]
	v_fma_f64 v[62:63], v[68:69], s[0:1], v[86:87]
	v_fma_f64 v[64:65], v[145:146], s[0:1], -v[98:99]
	v_fma_f64 v[70:71], v[68:69], s[18:19], v[104:105]
	v_fma_f64 v[72:73], v[145:146], s[18:19], -v[112:113]
	;; [unrolled: 2-line block ×4, first 2 shown]
	v_fma_f64 v[159:160], v[155:156], s[18:19], -v[139:140]
	v_fma_f64 v[157:158], v[60:61], s[18:19], v[135:136]
	v_fma_f64 v[161:162], v[60:61], s[28:29], v[143:144]
	v_fma_f64 v[163:164], v[155:156], s[28:29], -v[147:148]
	v_add_f64 v[0:1], v[12:13], v[0:1]
	v_add_f64 v[2:3], v[14:15], v[2:3]
	v_add_f64 v[56:57], v[12:13], v[56:57]
	v_add_f64 v[78:79], v[14:15], v[58:59]
	v_add_f64 v[58:59], v[36:37], -v[24:25]
	v_add_f64 v[0:1], v[62:63], v[0:1]
	v_add_f64 v[2:3], v[64:65], v[2:3]
	;; [unrolled: 1-line block ×5, first 2 shown]
	v_add_f64 v[56:57], v[32:33], -v[28:29]
	v_mul_f64 v[94:95], v[58:59], s[30:31]
	v_mul_f64 v[100:101], v[58:59], s[36:37]
	;; [unrolled: 1-line block ×3, first 2 shown]
	v_add_f64 v[0:1], v[80:81], v[0:1]
	v_add_f64 v[2:3], v[82:83], v[2:3]
	;; [unrolled: 1-line block ×6, first 2 shown]
	v_mul_f64 v[70:71], v[128:129], s[20:21]
	v_mul_f64 v[72:73], v[56:57], s[20:21]
	;; [unrolled: 1-line block ×3, first 2 shown]
	v_fma_f64 v[165:166], v[62:63], s[28:29], v[92:93]
	v_fma_f64 v[167:168], v[124:125], s[28:29], -v[94:95]
	v_fma_f64 v[169:170], v[62:63], s[34:35], v[96:97]
	v_fma_f64 v[171:172], v[124:125], s[34:35], -v[100:101]
	v_add_f64 v[0:1], v[157:158], v[0:1]
	v_add_f64 v[2:3], v[159:160], v[2:3]
	;; [unrolled: 1-line block ×4, first 2 shown]
	v_fma_f64 v[161:162], v[64:65], s[16:17], v[78:79]
	v_fma_f64 v[157:158], v[64:65], s[24:25], v[70:71]
	v_fma_f64 v[159:160], v[137:138], s[24:25], -v[72:73]
	v_fma_f64 v[163:164], v[137:138], s[16:17], -v[84:85]
	v_add_f64 v[0:1], v[165:166], v[0:1]
	v_add_f64 v[2:3], v[167:168], v[2:3]
	;; [unrolled: 1-line block ×4, first 2 shown]
	s_delay_alu instid0(VALU_DEP_4) | instskip(NEXT) | instid1(VALU_DEP_4)
	v_add_f64 v[0:1], v[157:158], v[0:1]
	v_add_f64 v[2:3], v[159:160], v[2:3]
	s_delay_alu instid0(VALU_DEP_4) | instskip(NEXT) | instid1(VALU_DEP_4)
	v_add_f64 v[80:81], v[161:162], v[80:81]
	v_add_f64 v[82:83], v[163:164], v[82:83]
	s_and_saveexec_b32 s33, vcc_lo
	s_cbranch_execz .LBB0_7
; %bb.6:
	v_add_f64 v[50:51], v[14:15], v[50:51]
	v_add_f64 v[48:49], v[12:13], v[48:49]
	v_mul_f64 v[159:160], v[153:154], s[18:19]
	v_mul_f64 v[163:164], v[153:154], s[16:17]
	;; [unrolled: 1-line block ×6, first 2 shown]
	s_mov_b32 s41, 0x3fedeba7
	s_mov_b32 s40, s10
	;; [unrolled: 1-line block ×4, first 2 shown]
	v_mul_f64 v[169:170], v[68:69], s[18:19]
	v_mul_f64 v[171:172], v[145:146], s[18:19]
	;; [unrolled: 1-line block ×22, first 2 shown]
	s_mov_b32 s43, 0x3fea55e2
	s_mov_b32 s42, s6
	v_mul_f64 v[220:221], v[102:103], s[30:31]
	v_mul_f64 v[222:223], v[102:103], s[6:7]
	v_add_f64 v[50:51], v[54:55], v[50:51]
	v_add_f64 v[48:49], v[52:53], v[48:49]
	v_mul_f64 v[52:53], v[153:154], s[28:29]
	v_mul_f64 v[54:55], v[151:152], s[30:31]
	v_fma_f64 v[242:243], v[76:77], s[40:41], v[159:160]
	v_fma_f64 v[159:160], v[76:77], s[10:11], v[159:160]
	;; [unrolled: 1-line block ×3, first 2 shown]
	v_add_f64 v[110:111], v[165:166], -v[110:111]
	v_fma_f64 v[244:245], v[74:75], s[18:19], v[161:162]
	v_fma_f64 v[161:162], v[74:75], s[18:19], -v[161:162]
	v_add_f64 v[108:109], v[108:109], v[163:164]
	v_add_f64 v[106:107], v[157:158], -v[106:107]
	v_add_f64 v[104:105], v[169:170], -v[104:105]
	v_add_f64 v[112:113], v[112:113], v[171:172]
	v_add_f64 v[126:127], v[173:174], -v[126:127]
	v_fma_f64 v[157:158], v[88:89], s[8:9], v[181:182]
	v_fma_f64 v[163:164], v[88:89], s[38:39], v[181:182]
	;; [unrolled: 1-line block ×9, first 2 shown]
	v_fma_f64 v[189:190], v[68:69], s[16:17], -v[189:190]
	v_mul_f64 v[224:225], v[102:103], s[38:39]
	v_fma_f64 v[169:170], v[68:69], s[34:35], v[203:204]
	v_add_f64 v[135:136], v[210:211], -v[135:136]
	v_mul_f64 v[102:103], v[102:103], s[40:41]
	v_fma_f64 v[203:204], v[68:69], s[34:35], -v[203:204]
	v_mul_f64 v[212:213], v[66:67], s[34:35]
	v_mul_f64 v[177:178], v[60:61], s[28:29]
	v_add_f64 v[98:99], v[98:99], v[145:146]
	v_add_f64 v[86:87], v[216:217], -v[86:87]
	v_mul_f64 v[214:215], v[90:91], s[26:27]
	v_mul_f64 v[218:219], v[90:91], s[38:39]
	v_add_f64 v[130:131], v[130:131], v[175:176]
	v_mul_f64 v[230:231], v[62:63], s[34:35]
	v_add_f64 v[46:47], v[46:47], v[50:51]
	v_add_f64 v[44:45], v[44:45], v[48:49]
	v_mul_f64 v[48:49], v[153:154], s[24:25]
	v_mul_f64 v[50:51], v[151:152], s[20:21]
	;; [unrolled: 1-line block ×4, first 2 shown]
	v_fma_f64 v[238:239], v[76:77], s[22:23], v[52:53]
	v_fma_f64 v[240:241], v[74:75], s[28:29], v[54:55]
	;; [unrolled: 1-line block ×3, first 2 shown]
	v_fma_f64 v[54:55], v[74:75], s[28:29], -v[54:55]
	v_add_f64 v[110:111], v[12:13], v[110:111]
	v_add_f64 v[159:160], v[14:15], v[159:160]
	;; [unrolled: 1-line block ×7, first 2 shown]
	v_mul_f64 v[179:180], v[124:125], s[34:35]
	v_mul_f64 v[216:217], v[116:117], s[38:39]
	;; [unrolled: 1-line block ×7, first 2 shown]
	v_add_f64 v[120:121], v[212:213], -v[120:121]
	v_add_f64 v[143:144], v[177:178], -v[143:144]
	v_mul_f64 v[177:178], v[64:65], s[16:17]
	v_mul_f64 v[212:213], v[128:129], s[10:11]
	v_add_f64 v[96:97], v[230:231], -v[96:97]
	v_add_f64 v[42:43], v[42:43], v[46:47]
	v_add_f64 v[40:41], v[40:41], v[44:45]
	v_mul_f64 v[44:45], v[155:156], s[0:1]
	v_mul_f64 v[46:47], v[149:150], s[28:29]
	v_fma_f64 v[234:235], v[76:77], s[44:45], v[48:49]
	v_fma_f64 v[236:237], v[74:75], s[24:25], v[50:51]
	;; [unrolled: 1-line block ×3, first 2 shown]
	v_fma_f64 v[50:51], v[74:75], s[24:25], -v[50:51]
	v_fma_f64 v[76:77], v[76:77], s[26:27], v[167:168]
	v_add_f64 v[114:115], v[114:115], v[153:154]
	v_mul_f64 v[155:156], v[155:156], s[18:19]
	v_mul_f64 v[149:150], v[149:150], s[34:35]
	v_fma_f64 v[248:249], v[74:75], s[34:35], v[151:152]
	v_fma_f64 v[74:75], v[74:75], s[34:35], -v[151:152]
	v_fma_f64 v[167:168], v[118:119], s[42:43], v[185:186]
	v_fma_f64 v[185:186], v[118:119], s[6:7], v[185:186]
	v_add_f64 v[238:239], v[14:15], v[238:239]
	v_add_f64 v[240:241], v[12:13], v[240:241]
	;; [unrolled: 1-line block ×7, first 2 shown]
	v_add_f64 v[92:93], v[226:227], -v[92:93]
	v_add_f64 v[72:73], v[72:73], v[171:172]
	v_add_f64 v[70:71], v[175:176], -v[70:71]
	v_add_f64 v[78:79], v[177:178], -v[78:79]
	v_add_f64 v[38:39], v[38:39], v[42:43]
	v_add_f64 v[36:37], v[36:37], v[40:41]
	v_fma_f64 v[151:152], v[133:134], s[6:7], v[44:45]
	v_fma_f64 v[153:154], v[118:119], s[22:23], v[46:47]
	;; [unrolled: 1-line block ×4, first 2 shown]
	v_add_f64 v[210:211], v[12:13], v[236:237]
	v_add_f64 v[48:49], v[14:15], v[48:49]
	;; [unrolled: 1-line block ×6, first 2 shown]
	v_fma_f64 v[155:156], v[68:69], s[28:29], v[208:209]
	v_fma_f64 v[208:209], v[68:69], s[28:29], -v[208:209]
	v_add_f64 v[122:123], v[122:123], v[149:150]
	v_fma_f64 v[149:150], v[68:69], s[24:25], v[141:142]
	v_fma_f64 v[68:69], v[68:69], s[24:25], -v[141:142]
	v_add_f64 v[74:75], v[12:13], v[74:75]
	v_add_f64 v[145:146], v[14:15], v[234:235]
	;; [unrolled: 1-line block ×5, first 2 shown]
	v_fma_f64 v[106:107], v[66:67], s[0:1], v[222:223]
	v_add_f64 v[181:182], v[181:182], v[238:239]
	v_add_f64 v[169:170], v[169:170], v[240:241]
	;; [unrolled: 1-line block ×3, first 2 shown]
	v_fma_f64 v[108:109], v[66:67], s[0:1], -v[222:223]
	v_fma_f64 v[222:223], v[66:67], s[16:17], -v[224:225]
	v_add_f64 v[54:55], v[203:204], v[54:55]
	v_mul_f64 v[40:41], v[124:125], s[18:19]
	v_mul_f64 v[236:237], v[124:125], s[16:17]
	v_add_f64 v[104:105], v[126:127], v[104:105]
	v_mul_f64 v[42:43], v[128:129], s[36:37]
	v_mul_f64 v[141:142], v[137:138], s[16:17]
	;; [unrolled: 1-line block ×3, first 2 shown]
	v_add_f64 v[34:35], v[34:35], v[38:39]
	v_add_f64 v[32:33], v[32:33], v[36:37]
	v_fma_f64 v[36:37], v[88:89], s[30:31], v[195:196]
	v_fma_f64 v[38:39], v[133:134], s[26:27], v[191:192]
	;; [unrolled: 1-line block ×10, first 2 shown]
	v_mul_f64 v[201:202], v[116:117], s[10:11]
	v_add_f64 v[173:174], v[173:174], v[210:211]
	v_mul_f64 v[210:211], v[90:91], s[42:43]
	v_add_f64 v[48:49], v[163:164], v[48:49]
	v_mul_f64 v[90:91], v[90:91], s[44:45]
	v_add_f64 v[50:51], v[189:190], v[50:51]
	v_add_f64 v[68:69], v[68:69], v[74:75]
	v_add_f64 v[74:75], v[208:209], v[161:162]
	;; [unrolled: 1-line block ×6, first 2 shown]
	v_mul_f64 v[157:158], v[124:125], s[24:25]
	v_add_f64 v[52:53], v[185:186], v[52:53]
	v_mul_f64 v[124:125], v[124:125], s[0:1]
	v_mul_f64 v[163:164], v[116:117], s[6:7]
	v_fma_f64 v[98:99], v[60:61], s[16:17], -v[218:219]
	v_mul_f64 v[116:117], v[116:117], s[44:45]
	v_fma_f64 v[86:87], v[60:61], s[16:17], v[218:219]
	v_add_f64 v[54:55], v[108:109], v[54:55]
	v_fma_f64 v[155:156], v[58:59], s[40:41], v[40:41]
	v_fma_f64 v[40:41], v[58:59], s[10:11], v[40:41]
	v_mul_f64 v[189:190], v[128:129], s[30:31]
	v_mul_f64 v[128:129], v[128:129], s[42:43]
	v_fma_f64 v[161:162], v[64:65], s[34:35], v[42:43]
	v_fma_f64 v[42:43], v[64:65], s[34:35], -v[42:43]
	v_add_f64 v[30:31], v[30:31], v[34:35]
	v_add_f64 v[28:29], v[28:29], v[32:33]
	v_fma_f64 v[32:33], v[66:67], s[28:29], v[220:221]
	v_fma_f64 v[34:35], v[66:67], s[28:29], -v[220:221]
	v_fma_f64 v[220:221], v[66:67], s[16:17], v[224:225]
	v_fma_f64 v[224:225], v[66:67], s[18:19], v[102:103]
	v_fma_f64 v[66:67], v[66:67], s[18:19], -v[102:103]
	v_add_f64 v[159:160], v[193:194], v[159:160]
	v_add_f64 v[36:37], v[36:37], v[242:243]
	v_mul_f64 v[102:103], v[137:138], s[0:1]
	v_mul_f64 v[137:138], v[137:138], s[28:29]
	v_add_f64 v[76:77], v[88:89], v[76:77]
	v_add_f64 v[88:89], v[112:113], v[114:115]
	;; [unrolled: 1-line block ×4, first 2 shown]
	v_fma_f64 v[187:188], v[62:63], s[18:19], v[201:202]
	v_fma_f64 v[199:200], v[62:63], s[18:19], -v[201:202]
	v_fma_f64 v[201:202], v[60:61], s[0:1], v[210:211]
	v_fma_f64 v[203:204], v[60:61], s[0:1], -v[210:211]
	v_fma_f64 v[208:209], v[60:61], s[24:25], v[90:91]
	v_add_f64 v[46:47], v[46:47], v[48:49]
	v_add_f64 v[48:49], v[167:168], v[181:182]
	;; [unrolled: 1-line block ×4, first 2 shown]
	v_fma_f64 v[120:121], v[58:59], s[44:45], v[157:158]
	v_add_f64 v[84:85], v[84:85], v[141:142]
	v_fma_f64 v[122:123], v[58:59], s[42:43], v[124:125]
	v_fma_f64 v[126:127], v[62:63], s[0:1], v[163:164]
	;; [unrolled: 1-line block ×4, first 2 shown]
	v_add_f64 v[26:27], v[26:27], v[30:31]
	v_add_f64 v[24:25], v[24:25], v[28:29]
	;; [unrolled: 1-line block ×5, first 2 shown]
	v_fma_f64 v[30:31], v[60:61], s[34:35], -v[214:215]
	v_add_f64 v[66:67], v[66:67], v[68:69]
	v_add_f64 v[106:107], v[191:192], v[159:160]
	;; [unrolled: 1-line block ×3, first 2 shown]
	v_fma_f64 v[28:29], v[60:61], s[34:35], v[214:215]
	v_fma_f64 v[60:61], v[60:61], s[24:25], -v[90:91]
	v_add_f64 v[76:77], v[118:119], v[76:77]
	v_add_f64 v[88:89], v[130:131], v[88:89]
	;; [unrolled: 1-line block ×7, first 2 shown]
	v_fma_f64 v[112:113], v[58:59], s[38:39], v[236:237]
	v_fma_f64 v[118:119], v[58:59], s[20:21], v[157:158]
	v_add_f64 v[44:45], v[44:45], v[46:47]
	v_add_f64 v[46:47], v[165:166], v[48:49]
	v_fma_f64 v[114:115], v[62:63], s[16:17], -v[216:217]
	v_fma_f64 v[130:131], v[62:63], s[24:25], v[116:117]
	v_add_f64 v[14:15], v[139:140], v[14:15]
	v_add_f64 v[12:13], v[135:136], v[12:13]
	;; [unrolled: 1-line block ×4, first 2 shown]
	v_fma_f64 v[26:27], v[62:63], s[16:17], v[216:217]
	v_add_f64 v[32:33], v[201:202], v[32:33]
	v_add_f64 v[34:35], v[203:204], v[34:35]
	;; [unrolled: 1-line block ×4, first 2 shown]
	v_fma_f64 v[24:25], v[58:59], s[8:9], v[236:237]
	v_fma_f64 v[58:59], v[58:59], s[6:7], v[124:125]
	v_fma_f64 v[124:125], v[62:63], s[0:1], -v[163:164]
	v_add_f64 v[66:67], v[98:99], v[66:67]
	v_add_f64 v[52:53], v[133:134], v[76:77]
	;; [unrolled: 1-line block ×4, first 2 shown]
	v_fma_f64 v[62:63], v[62:63], s[24:25], -v[116:117]
	v_add_f64 v[38:39], v[38:39], v[106:107]
	v_add_f64 v[30:31], v[30:31], v[68:69]
	;; [unrolled: 1-line block ×9, first 2 shown]
	v_fma_f64 v[74:75], v[56:57], s[10:11], v[234:235]
	v_fma_f64 v[98:99], v[56:57], s[6:7], v[102:103]
	v_fma_f64 v[102:103], v[56:57], s[42:43], v[102:103]
	v_fma_f64 v[104:105], v[56:57], s[22:23], v[137:138]
	v_fma_f64 v[108:109], v[64:65], s[28:29], -v[189:190]
	v_fma_f64 v[86:87], v[64:65], s[18:19], -v[212:213]
	v_fma_f64 v[106:107], v[64:65], s[28:29], v[189:190]
	v_fma_f64 v[110:111], v[64:65], s[0:1], v[128:129]
	v_add_f64 v[92:93], v[92:93], v[12:13]
	v_add_f64 v[18:19], v[18:19], v[22:23]
	;; [unrolled: 1-line block ×3, first 2 shown]
	v_fma_f64 v[20:21], v[56:57], s[40:41], v[234:235]
	v_add_f64 v[32:33], v[187:188], v[32:33]
	v_add_f64 v[34:35], v[199:200], v[34:35]
	;; [unrolled: 1-line block ×4, first 2 shown]
	v_fma_f64 v[56:57], v[56:57], s[30:31], v[137:138]
	v_add_f64 v[24:25], v[24:25], v[46:47]
	v_fma_f64 v[22:23], v[64:65], s[18:19], v[212:213]
	v_fma_f64 v[64:65], v[64:65], s[0:1], -v[128:129]
	v_add_f64 v[46:47], v[58:59], v[52:53]
	v_add_f64 v[48:49], v[100:101], v[76:77]
	;; [unrolled: 1-line block ×35, first 2 shown]
	v_and_b32_e32 v48, 0xffff, v207
	s_delay_alu instid0(VALU_DEP_1)
	v_lshlrev_b32_e32 v48, 4, v48
	v_add_f64 v[6:7], v[6:7], v[76:77]
	v_add_f64 v[4:5], v[4:5], v[88:89]
	ds_store_b128 v48, v[32:35] offset:32
	ds_store_b128 v48, v[28:31] offset:48
	;; [unrolled: 1-line block ×10, first 2 shown]
	ds_store_b128 v48, v[4:7]
	ds_store_b128 v48, v[44:47] offset:16
	ds_store_b128 v48, v[0:3] offset:192
.LBB0_7:
	s_or_b32 exec_lo, exec_lo, s33
	v_and_b32_e32 v4, 0xff, v206
	s_load_b128 s[4:7], s[4:5], 0x0
	s_waitcnt lgkmcnt(0)
	s_barrier
	buffer_gl0_inv
	v_mul_lo_u16 v4, 0x4f, v4
	s_mov_b32 s24, 0xf8bb580b
	s_mov_b32 s25, 0xbfe14ced
	;; [unrolled: 1-line block ×4, first 2 shown]
	v_lshrrev_b16 v64, 10, v4
	s_mov_b32 s22, 0x43842ef
	s_mov_b32 s23, 0xbfefac9e
	;; [unrolled: 1-line block ×4, first 2 shown]
	v_mul_lo_u16 v4, v64, 13
	s_mov_b32 s28, 0xfd768dbf
	s_mov_b32 s29, 0xbfd207e7
	;; [unrolled: 1-line block ×4, first 2 shown]
	v_sub_nc_u16 v4, v206, v4
	s_mov_b32 s1, 0x3feaeb8c
	s_mov_b32 s9, 0x3fda9628
	;; [unrolled: 1-line block ×4, first 2 shown]
	v_and_b32_e32 v65, 0xff, v4
	s_mov_b32 s30, s24
	s_mov_b32 s11, 0xbfc2375f
	;; [unrolled: 1-line block ×4, first 2 shown]
	v_mul_u32_u24_e32 v4, 10, v65
	s_mov_b32 s34, s28
	s_mov_b32 s17, 0xbfe4f49e
	;; [unrolled: 1-line block ×4, first 2 shown]
	v_lshlrev_b32_e32 v8, 4, v4
	s_mov_b32 s36, s22
	s_mov_b32 s19, 0xbfeeb42a
	s_clause 0x9
	global_load_b128 v[36:39], v8, s[2:3]
	global_load_b128 v[4:7], v8, s[2:3] offset:144
	global_load_b128 v[40:43], v8, s[2:3] offset:16
	;; [unrolled: 1-line block ×9, first 2 shown]
	ds_load_b128 v[48:51], v205 offset:832
	ds_load_b128 v[44:47], v205
	ds_load_b128 v[52:55], v205 offset:8320
	ds_load_b128 v[56:59], v205 offset:1664
	;; [unrolled: 1-line block ×9, first 2 shown]
	s_waitcnt vmcnt(0) lgkmcnt(0)
	s_barrier
	buffer_gl0_inv
	v_mul_f64 v[78:79], v[50:51], v[38:39]
	v_mul_f64 v[96:97], v[48:49], v[38:39]
	v_mul_f64 v[98:99], v[52:53], v[6:7]
	v_mul_f64 v[100:101], v[54:55], v[6:7]
	v_mul_f64 v[102:103], v[58:59], v[42:43]
	v_mul_f64 v[104:105], v[56:57], v[42:43]
	v_mul_f64 v[110:111], v[68:69], v[34:35]
	v_mul_f64 v[112:113], v[66:67], v[34:35]
	v_mul_f64 v[114:115], v[70:71], v[26:27]
	v_mul_f64 v[116:117], v[72:73], v[26:27]
	v_mul_f64 v[106:107], v[60:61], v[30:31]
	v_mul_f64 v[108:109], v[62:63], v[30:31]
	v_mul_f64 v[118:119], v[86:87], v[22:23]
	v_mul_f64 v[122:123], v[76:77], v[18:19]
	v_mul_f64 v[124:125], v[74:75], v[18:19]
	v_mul_f64 v[126:127], v[90:91], v[14:15]
	v_mul_f64 v[128:129], v[88:89], v[14:15]
	v_mul_f64 v[130:131], v[94:95], v[10:11]
	v_mul_f64 v[120:121], v[84:85], v[22:23]
	v_mul_f64 v[133:134], v[92:93], v[10:11]
	v_fma_f64 v[78:79], v[48:49], v[36:37], -v[78:79]
	v_fma_f64 v[96:97], v[50:51], v[36:37], v[96:97]
	v_fma_f64 v[48:49], v[54:55], v[4:5], v[98:99]
	v_fma_f64 v[50:51], v[52:53], v[4:5], -v[100:101]
	v_fma_f64 v[98:99], v[56:57], v[40:41], -v[102:103]
	v_fma_f64 v[100:101], v[58:59], v[40:41], v[104:105]
	v_fma_f64 v[66:67], v[66:67], v[32:33], -v[110:111]
	v_fma_f64 v[68:69], v[68:69], v[32:33], v[112:113]
	v_fma_f64 v[56:57], v[72:73], v[24:25], v[114:115]
	v_fma_f64 v[58:59], v[70:71], v[24:25], -v[116:117]
	v_fma_f64 v[52:53], v[62:63], v[28:29], v[106:107]
	v_fma_f64 v[54:55], v[60:61], v[28:29], -v[108:109]
	v_fma_f64 v[70:71], v[84:85], v[20:21], -v[118:119]
	;; [unrolled: 1-line block ×3, first 2 shown]
	v_fma_f64 v[62:63], v[76:77], v[16:17], v[124:125]
	v_fma_f64 v[74:75], v[88:89], v[12:13], -v[126:127]
	v_fma_f64 v[76:77], v[90:91], v[12:13], v[128:129]
	v_fma_f64 v[84:85], v[92:93], v[8:9], -v[130:131]
	v_fma_f64 v[72:73], v[86:87], v[20:21], v[120:121]
	v_fma_f64 v[86:87], v[94:95], v[8:9], v[133:134]
	v_add_f64 v[102:103], v[44:45], v[78:79]
	v_add_f64 v[104:105], v[46:47], v[96:97]
	v_add_f64 v[88:89], v[96:97], -v[48:49]
	v_add_f64 v[90:91], v[78:79], -v[50:51]
	v_add_f64 v[78:79], v[78:79], v[50:51]
	v_add_f64 v[96:97], v[96:97], v[48:49]
	v_add_f64 v[106:107], v[68:69], -v[56:57]
	v_add_f64 v[108:109], v[66:67], -v[58:59]
	;; [unrolled: 4-line block ×3, first 2 shown]
	v_add_f64 v[114:115], v[70:71], v[60:61]
	v_add_f64 v[118:119], v[70:71], -v[60:61]
	v_add_f64 v[126:127], v[74:75], -v[84:85]
	v_add_f64 v[116:117], v[72:73], -v[62:63]
	v_add_f64 v[120:121], v[72:73], v[62:63]
	v_add_f64 v[128:129], v[76:77], -v[86:87]
	v_add_f64 v[122:123], v[74:75], v[84:85]
	v_add_f64 v[124:125], v[76:77], v[86:87]
	;; [unrolled: 1-line block ×4, first 2 shown]
	v_mul_f64 v[130:131], v[88:89], s[24:25]
	v_mul_f64 v[133:134], v[90:91], s[24:25]
	v_mul_f64 v[135:136], v[88:89], s[20:21]
	v_mul_f64 v[137:138], v[90:91], s[20:21]
	v_mul_f64 v[139:140], v[88:89], s[22:23]
	v_mul_f64 v[141:142], v[90:91], s[22:23]
	v_mul_f64 v[143:144], v[88:89], s[26:27]
	v_mul_f64 v[145:146], v[90:91], s[26:27]
	v_mul_f64 v[88:89], v[88:89], s[28:29]
	v_mul_f64 v[90:91], v[90:91], s[28:29]
	v_mul_f64 v[147:148], v[92:93], s[20:21]
	v_mul_f64 v[149:150], v[94:95], s[20:21]
	s_mov_b32 s21, 0x3fed1bb4
	v_add_f64 v[98:99], v[98:99], v[54:55]
	v_add_f64 v[100:101], v[100:101], v[52:53]
	v_mul_f64 v[151:152], v[92:93], s[26:27]
	v_mul_f64 v[153:154], v[94:95], s[26:27]
	;; [unrolled: 1-line block ×21, first 2 shown]
	v_add_f64 v[66:67], v[102:103], v[66:67]
	v_add_f64 v[68:69], v[104:105], v[68:69]
	v_mul_f64 v[102:103], v[92:93], s[34:35]
	v_mul_f64 v[104:105], v[94:95], s[34:35]
	v_fma_f64 v[210:211], v[78:79], s[8:9], -v[135:136]
	v_fma_f64 v[212:213], v[96:97], s[8:9], v[137:138]
	v_fma_f64 v[214:215], v[78:79], s[10:11], -v[139:140]
	v_fma_f64 v[216:217], v[96:97], s[10:11], v[141:142]
	v_fma_f64 v[135:136], v[78:79], s[8:9], v[135:136]
	;; [unrolled: 1-line block ×3, first 2 shown]
	v_fma_f64 v[218:219], v[78:79], s[16:17], -v[143:144]
	v_fma_f64 v[220:221], v[96:97], s[16:17], v[145:146]
	v_mul_f64 v[92:93], v[92:93], s[30:31]
	v_mul_f64 v[94:95], v[94:95], s[30:31]
	v_fma_f64 v[143:144], v[78:79], s[16:17], v[143:144]
	v_fma_f64 v[222:223], v[78:79], s[18:19], -v[88:89]
	v_fma_f64 v[224:225], v[96:97], s[18:19], v[90:91]
	v_fma_f64 v[145:146], v[96:97], s[16:17], -v[145:146]
	v_fma_f64 v[141:142], v[96:97], s[10:11], -v[141:142]
	;; [unrolled: 1-line block ×4, first 2 shown]
	v_fma_f64 v[228:229], v[100:101], s[16:17], v[153:154]
	v_fma_f64 v[151:152], v[98:99], s[16:17], v[151:152]
	v_fma_f64 v[234:235], v[98:99], s[10:11], -v[155:156]
	v_fma_f64 v[236:237], v[100:101], s[10:11], v[157:158]
	v_fma_f64 v[155:156], v[98:99], s[10:11], v[155:156]
	v_fma_f64 v[153:154], v[100:101], s[16:17], -v[153:154]
	v_mul_f64 v[181:182], v[118:119], s[36:37]
	v_mul_f64 v[183:184], v[116:117], s[24:25]
	;; [unrolled: 1-line block ×8, first 2 shown]
	v_fma_f64 v[238:239], v[110:111], s[18:19], -v[163:164]
	v_fma_f64 v[240:241], v[112:113], s[18:19], v[165:166]
	v_fma_f64 v[163:164], v[110:111], s[18:19], v[163:164]
	v_add_f64 v[66:67], v[66:67], v[70:71]
	v_add_f64 v[68:69], v[68:69], v[72:73]
	v_mul_f64 v[70:71], v[126:127], s[20:21]
	v_fma_f64 v[72:73], v[78:79], s[0:1], -v[130:131]
	v_fma_f64 v[126:127], v[96:97], s[0:1], v[133:134]
	v_fma_f64 v[130:131], v[78:79], s[0:1], v[130:131]
	v_fma_f64 v[133:134], v[96:97], s[0:1], -v[133:134]
	v_fma_f64 v[78:79], v[78:79], s[18:19], v[88:89]
	v_fma_f64 v[88:89], v[96:97], s[18:19], -v[90:91]
	v_fma_f64 v[90:91], v[98:99], s[8:9], -v[147:148]
	v_fma_f64 v[96:97], v[100:101], s[8:9], v[149:150]
	v_fma_f64 v[147:148], v[98:99], s[8:9], v[147:148]
	v_fma_f64 v[149:150], v[100:101], s[8:9], -v[149:150]
	v_add_f64 v[210:211], v[44:45], v[210:211]
	v_add_f64 v[212:213], v[46:47], v[212:213]
	v_fma_f64 v[230:231], v[98:99], s[18:19], -v[102:103]
	v_fma_f64 v[232:233], v[100:101], s[18:19], v[104:105]
	v_add_f64 v[214:215], v[44:45], v[214:215]
	v_add_f64 v[216:217], v[46:47], v[216:217]
	v_fma_f64 v[102:103], v[98:99], s[18:19], v[102:103]
	v_add_f64 v[135:136], v[44:45], v[135:136]
	v_add_f64 v[139:140], v[44:45], v[139:140]
	;; [unrolled: 1-line block ×7, first 2 shown]
	v_fma_f64 v[104:105], v[100:101], s[18:19], -v[104:105]
	v_add_f64 v[141:142], v[46:47], v[141:142]
	v_add_f64 v[137:138], v[46:47], v[137:138]
	v_fma_f64 v[165:166], v[112:113], s[18:19], -v[165:166]
	v_fma_f64 v[242:243], v[110:111], s[0:1], -v[167:168]
	v_fma_f64 v[244:245], v[112:113], s[0:1], v[169:170]
	v_fma_f64 v[167:168], v[110:111], s[0:1], v[167:168]
	v_fma_f64 v[169:170], v[112:113], s[0:1], -v[169:170]
	v_fma_f64 v[250:251], v[110:111], s[8:9], -v[106:107]
	v_fma_f64 v[106:107], v[110:111], s[8:9], v[106:107]
	v_mul_f64 v[195:196], v[128:129], s[30:31]
	v_add_f64 v[66:67], v[66:67], v[74:75]
	v_add_f64 v[68:69], v[68:69], v[76:77]
	v_fma_f64 v[74:75], v[100:101], s[10:11], -v[157:158]
	v_add_f64 v[72:73], v[44:45], v[72:73]
	v_fma_f64 v[76:77], v[98:99], s[0:1], -v[92:93]
	v_add_f64 v[130:131], v[44:45], v[130:131]
	v_add_f64 v[133:134], v[46:47], v[133:134]
	v_fma_f64 v[157:158], v[100:101], s[0:1], v[94:95]
	v_fma_f64 v[92:93], v[98:99], s[0:1], v[92:93]
	v_fma_f64 v[94:95], v[100:101], s[0:1], -v[94:95]
	v_add_f64 v[44:45], v[44:45], v[78:79]
	v_add_f64 v[78:79], v[46:47], v[88:89]
	;; [unrolled: 1-line block ×4, first 2 shown]
	v_fma_f64 v[98:99], v[110:111], s[10:11], -v[159:160]
	v_fma_f64 v[100:101], v[112:113], s[10:11], v[161:162]
	v_fma_f64 v[159:160], v[110:111], s[10:11], v[159:160]
	v_fma_f64 v[161:162], v[112:113], s[10:11], -v[161:162]
	v_fma_f64 v[126:127], v[110:111], s[16:17], v[171:172]
	v_fma_f64 v[145:146], v[112:113], s[16:17], -v[173:174]
	v_add_f64 v[135:136], v[151:152], v[135:136]
	v_add_f64 v[102:103], v[102:103], v[139:140]
	;; [unrolled: 1-line block ×5, first 2 shown]
	v_fma_f64 v[246:247], v[114:115], s[10:11], -v[179:180]
	v_fma_f64 v[248:249], v[120:121], s[10:11], v[181:182]
	v_fma_f64 v[179:180], v[114:115], s[10:11], v[179:180]
	v_mul_f64 v[199:200], v[128:129], s[26:27]
	v_mul_f64 v[203:204], v[128:129], s[22:23]
	;; [unrolled: 1-line block ×3, first 2 shown]
	v_fma_f64 v[181:182], v[120:121], s[10:11], -v[181:182]
	v_add_f64 v[66:67], v[66:67], v[84:85]
	v_add_f64 v[68:69], v[68:69], v[86:87]
	v_fma_f64 v[84:85], v[110:111], s[16:17], -v[171:172]
	v_fma_f64 v[86:87], v[112:113], s[16:17], v[173:174]
	v_fma_f64 v[110:111], v[112:113], s[8:9], v[108:109]
	v_fma_f64 v[108:109], v[112:113], s[8:9], -v[108:109]
	v_add_f64 v[72:73], v[90:91], v[72:73]
	v_add_f64 v[90:91], v[147:148], v[130:131]
	;; [unrolled: 1-line block ×15, first 2 shown]
	v_fma_f64 v[171:172], v[114:115], s[16:17], -v[175:176]
	v_fma_f64 v[173:174], v[120:121], s[16:17], v[177:178]
	v_fma_f64 v[175:176], v[114:115], s[16:17], v[175:176]
	v_fma_f64 v[177:178], v[120:121], s[16:17], -v[177:178]
	v_fma_f64 v[94:95], v[114:115], s[0:1], v[183:184]
	v_fma_f64 v[96:97], v[120:121], s[0:1], -v[185:186]
	v_fma_f64 v[104:105], v[114:115], s[18:19], -v[187:188]
	v_fma_f64 v[137:138], v[120:121], s[18:19], v[189:190]
	v_fma_f64 v[141:142], v[114:115], s[18:19], v[187:188]
	v_fma_f64 v[153:154], v[120:121], s[18:19], -v[189:190]
	v_fma_f64 v[157:158], v[122:123], s[18:19], -v[191:192]
	;; [unrolled: 1-line block ×3, first 2 shown]
	v_add_f64 v[102:103], v[106:107], v[102:103]
	v_add_f64 v[106:107], v[242:243], v[139:140]
	v_fma_f64 v[187:188], v[124:125], s[18:19], -v[193:194]
	v_fma_f64 v[139:140], v[124:125], s[16:17], v[201:202]
	v_add_f64 v[60:61], v[66:67], v[60:61]
	v_add_f64 v[62:63], v[68:69], v[62:63]
	v_fma_f64 v[66:67], v[114:115], s[0:1], -v[183:184]
	v_fma_f64 v[68:69], v[120:121], s[0:1], v[185:186]
	v_fma_f64 v[185:186], v[122:123], s[18:19], v[191:192]
	;; [unrolled: 1-line block ×4, first 2 shown]
	v_fma_f64 v[116:117], v[120:121], s[8:9], -v[118:119]
	v_add_f64 v[72:73], v[98:99], v[72:73]
	v_add_f64 v[90:91], v[159:160], v[90:91]
	;; [unrolled: 1-line block ×18, first 2 shown]
	v_fma_f64 v[183:184], v[124:125], s[18:19], v[193:194]
	v_fma_f64 v[108:109], v[124:125], s[0:1], -v[197:198]
	v_fma_f64 v[145:146], v[124:125], s[16:17], -v[201:202]
	v_fma_f64 v[149:150], v[124:125], s[10:11], v[208:209]
	v_fma_f64 v[155:156], v[124:125], s[10:11], -v[208:209]
	v_fma_f64 v[161:162], v[124:125], s[8:9], v[70:71]
	v_fma_f64 v[126:127], v[122:123], s[16:17], -v[199:200]
	v_fma_f64 v[159:160], v[122:123], s[8:9], -v[128:129]
	v_add_f64 v[104:105], v[104:105], v[106:107]
	v_fma_f64 v[147:148], v[122:123], s[10:11], -v[203:204]
	v_fma_f64 v[151:152], v[122:123], s[10:11], v[203:204]
	v_fma_f64 v[92:93], v[122:123], s[0:1], v[195:196]
	v_add_f64 v[58:59], v[60:61], v[58:59]
	v_add_f64 v[56:57], v[62:63], v[56:57]
	v_fma_f64 v[60:61], v[122:123], s[0:1], -v[195:196]
	v_fma_f64 v[62:63], v[124:125], s[0:1], v[197:198]
	v_fma_f64 v[124:125], v[124:125], s[8:9], -v[70:71]
	v_fma_f64 v[143:144], v[122:123], s[16:17], v[199:200]
	v_fma_f64 v[122:123], v[122:123], s[8:9], v[128:129]
	v_add_f64 v[94:95], v[94:95], v[102:103]
	v_add_f64 v[70:71], v[171:172], v[72:73]
	v_add_f64 v[72:73], v[175:176], v[90:91]
	v_add_f64 v[90:91], v[177:178], v[98:99]
	v_add_f64 v[98:99], v[246:247], v[112:113]
	v_add_f64 v[112:113], v[248:249], v[118:119]
	v_add_f64 v[66:67], v[66:67], v[130:131]
	v_add_f64 v[68:69], v[68:69], v[110:111]
	v_add_f64 v[106:107], v[137:138], v[133:134]
	v_add_f64 v[118:119], v[179:180], v[120:121]
	v_add_f64 v[76:77], v[189:190], v[76:77]
	v_add_f64 v[120:121], v[191:192], v[84:85]
	v_add_f64 v[114:115], v[114:115], v[44:45]
	v_add_f64 v[78:79], v[116:117], v[78:79]
	v_add_f64 v[110:111], v[141:142], v[135:136]
	v_add_f64 v[116:117], v[153:154], v[74:75]
	v_add_f64 v[86:87], v[96:97], v[86:87]
	v_add_f64 v[88:89], v[181:182], v[88:89]
	v_add_f64 v[46:47], v[173:174], v[46:47]
	v_cmp_gt_u16_e64 s0, 39, v206
	v_add_f64 v[128:129], v[58:59], v[54:55]
	v_add_f64 v[130:131], v[56:57], v[52:53]
	;; [unrolled: 1-line block ×24, first 2 shown]
	v_and_b32_e32 v48, 0xffff, v64
	s_delay_alu instid0(VALU_DEP_1) | instskip(NEXT) | instid1(VALU_DEP_1)
	v_mul_u32_u24_e32 v48, 0x8f, v48
	v_add_lshl_u32 v208, v48, v65, 4
	ds_store_b128 v208, v[52:55] offset:416
	ds_store_b128 v208, v[56:59] offset:624
	;; [unrolled: 1-line block ×9, first 2 shown]
	ds_store_b128 v208, v[88:91]
	ds_store_b128 v208, v[44:47] offset:208
	s_waitcnt lgkmcnt(0)
	s_barrier
	buffer_gl0_inv
	ds_load_b128 v[88:91], v205
	ds_load_b128 v[92:95], v205 offset:832
	ds_load_b128 v[116:119], v205 offset:2288
	;; [unrolled: 1-line block ×7, first 2 shown]
	s_and_saveexec_b32 s1, s0
	s_cbranch_execz .LBB0_9
; %bb.8:
	ds_load_b128 v[84:87], v205 offset:1664
	ds_load_b128 v[96:99], v205 offset:3952
	;; [unrolled: 1-line block ×4, first 2 shown]
.LBB0_9:
	s_or_b32 exec_lo, exec_lo, s1
	v_mad_u64_u32 v[44:45], null, v206, 48, s[2:3]
	v_add_nc_u32_e32 v46, 0x68, v206
	v_subrev_nc_u32_e32 v47, 39, v206
	s_clause 0x2
	global_load_b128 v[56:59], v[44:45], off offset:2112
	global_load_b128 v[60:63], v[44:45], off offset:2096
	global_load_b128 v[64:67], v[44:45], off offset:2080
	v_cndmask_b32_e64 v48, v47, v46, s0
	v_add_co_u32 v46, s1, 0x1000, v44
	s_delay_alu instid0(VALU_DEP_1) | instskip(NEXT) | instid1(VALU_DEP_3)
	v_add_co_ci_u32_e64 v47, s1, 0, v45, s1
	v_mul_i32_i24_e32 v49, 48, v48
	v_add_co_u32 v44, s1, 0x11e0, v44
	v_mul_hi_i32_i24_e32 v48, 48, v48
	v_add_co_ci_u32_e64 v45, s1, 0, v45, s1
	global_load_b128 v[68:71], v[46:47], off offset:480
	v_add_co_u32 v46, s1, s2, v49
	s_delay_alu instid0(VALU_DEP_1)
	v_add_co_ci_u32_e64 v47, s1, s3, v48, s1
	s_clause 0x4
	global_load_b128 v[76:79], v[44:45], off offset:16
	global_load_b128 v[72:75], v[44:45], off offset:32
	global_load_b128 v[52:55], v[46:47], off offset:2080
	global_load_b128 v[48:51], v[46:47], off offset:2096
	global_load_b128 v[44:47], v[46:47], off offset:2112
	s_waitcnt vmcnt(8) lgkmcnt(1)
	v_mul_f64 v[137:138], v[126:127], v[58:59]
	s_waitcnt vmcnt(7)
	v_mul_f64 v[133:134], v[122:123], v[62:63]
	s_waitcnt vmcnt(6)
	v_mul_f64 v[128:129], v[118:119], v[66:67]
	v_mul_f64 v[130:131], v[116:117], v[66:67]
	;; [unrolled: 1-line block ×4, first 2 shown]
	s_waitcnt vmcnt(5)
	v_mul_f64 v[141:142], v[106:107], v[70:71]
	v_mul_f64 v[143:144], v[104:105], v[70:71]
	s_waitcnt vmcnt(4)
	v_mul_f64 v[145:146], v[110:111], v[78:79]
	v_mul_f64 v[147:148], v[108:109], v[78:79]
	s_waitcnt vmcnt(3) lgkmcnt(0)
	v_mul_f64 v[149:150], v[114:115], v[74:75]
	v_mul_f64 v[151:152], v[112:113], v[74:75]
	s_waitcnt vmcnt(2)
	v_mul_f64 v[153:154], v[98:99], v[54:55]
	v_mul_f64 v[155:156], v[96:97], v[54:55]
	s_waitcnt vmcnt(1)
	v_mul_f64 v[157:158], v[102:103], v[50:51]
	v_mul_f64 v[159:160], v[100:101], v[50:51]
	s_waitcnt vmcnt(0)
	v_mul_f64 v[161:162], v[82:83], v[46:47]
	v_mul_f64 v[163:164], v[80:81], v[46:47]
	v_fma_f64 v[124:125], v[124:125], v[56:57], -v[137:138]
	v_fma_f64 v[120:121], v[120:121], v[60:61], -v[133:134]
	;; [unrolled: 1-line block ×3, first 2 shown]
	v_fma_f64 v[118:119], v[118:119], v[64:65], v[130:131]
	v_fma_f64 v[122:123], v[122:123], v[60:61], v[135:136]
	;; [unrolled: 1-line block ×3, first 2 shown]
	v_fma_f64 v[104:105], v[104:105], v[68:69], -v[141:142]
	v_fma_f64 v[106:107], v[106:107], v[68:69], v[143:144]
	v_fma_f64 v[108:109], v[108:109], v[76:77], -v[145:146]
	v_fma_f64 v[110:111], v[110:111], v[76:77], v[147:148]
	;; [unrolled: 2-line block ×6, first 2 shown]
	v_add_f64 v[133:134], v[88:89], -v[120:121]
	v_add_f64 v[120:121], v[116:117], -v[124:125]
	;; [unrolled: 1-line block ×12, first 2 shown]
	v_fma_f64 v[102:103], v[88:89], 2.0, -v[133:134]
	v_fma_f64 v[88:89], v[116:117], 2.0, -v[120:121]
	;; [unrolled: 1-line block ×4, first 2 shown]
	v_add_f64 v[128:129], v[133:134], -v[122:123]
	v_add_f64 v[130:131], v[135:136], v[120:121]
	v_fma_f64 v[116:117], v[92:93], 2.0, -v[137:138]
	v_fma_f64 v[118:119], v[94:95], 2.0, -v[139:140]
	;; [unrolled: 1-line block ×4, first 2 shown]
	v_add_f64 v[104:105], v[137:138], -v[114:115]
	v_add_f64 v[106:107], v[139:140], v[112:113]
	v_fma_f64 v[145:146], v[84:85], 2.0, -v[100:101]
	v_fma_f64 v[147:148], v[86:87], 2.0, -v[141:142]
	;; [unrolled: 1-line block ×4, first 2 shown]
	v_add_f64 v[120:121], v[102:103], -v[88:89]
	v_add_f64 v[88:89], v[100:101], -v[82:83]
	;; [unrolled: 1-line block ×3, first 2 shown]
	v_add_f64 v[90:91], v[141:142], v[80:81]
	v_fma_f64 v[124:125], v[133:134], 2.0, -v[128:129]
	v_fma_f64 v[126:127], v[135:136], 2.0, -v[130:131]
	v_add_f64 v[108:109], v[116:117], -v[92:93]
	v_add_f64 v[110:111], v[118:119], -v[94:95]
	v_fma_f64 v[112:113], v[137:138], 2.0, -v[104:105]
	v_fma_f64 v[114:115], v[139:140], 2.0, -v[106:107]
	v_add_f64 v[92:93], v[145:146], -v[84:85]
	v_add_f64 v[94:95], v[147:148], -v[86:87]
	v_fma_f64 v[84:85], v[102:103], 2.0, -v[120:121]
	v_fma_f64 v[96:97], v[100:101], 2.0, -v[88:89]
	v_fma_f64 v[86:87], v[143:144], 2.0, -v[122:123]
	v_fma_f64 v[98:99], v[141:142], 2.0, -v[90:91]
	v_fma_f64 v[116:117], v[116:117], 2.0, -v[108:109]
	v_fma_f64 v[118:119], v[118:119], 2.0, -v[110:111]
	ds_store_b128 v205, v[84:87]
	ds_store_b128 v205, v[116:119] offset:832
	ds_store_b128 v205, v[124:127] offset:2288
	;; [unrolled: 1-line block ×7, first 2 shown]
	v_fma_f64 v[100:101], v[145:146], 2.0, -v[92:93]
	v_fma_f64 v[102:103], v[147:148], 2.0, -v[94:95]
	s_and_saveexec_b32 s1, s0
	s_cbranch_execz .LBB0_11
; %bb.10:
	ds_store_b128 v205, v[100:103] offset:1664
	ds_store_b128 v205, v[96:99] offset:3952
	;; [unrolled: 1-line block ×4, first 2 shown]
.LBB0_11:
	s_or_b32 exec_lo, exec_lo, s1
	s_waitcnt lgkmcnt(0)
	s_barrier
	buffer_gl0_inv
	s_and_saveexec_b32 s2, vcc_lo
	s_cbranch_execz .LBB0_13
; %bb.12:
	v_add_co_u32 v80, s1, s14, v205
	s_delay_alu instid0(VALU_DEP_1) | instskip(NEXT) | instid1(VALU_DEP_2)
	v_add_co_ci_u32_e64 v81, null, s15, 0, s1
	v_add_co_u32 v82, s1, 0x2000, v80
	s_delay_alu instid0(VALU_DEP_1) | instskip(SKIP_2) | instid1(VALU_DEP_1)
	v_add_co_ci_u32_e64 v83, s1, 0, v81, s1
	global_load_b128 v[133:136], v[82:83], off offset:960
	v_add_co_u32 v82, s1, 0x23c0, v80
	v_add_co_ci_u32_e64 v83, s1, 0, v81, s1
	v_add_co_u32 v181, s1, 0x3000, v80
	s_clause 0x4
	global_load_b128 v[137:140], v[82:83], off offset:704
	global_load_b128 v[141:144], v[82:83], off offset:1408
	;; [unrolled: 1-line block ×5, first 2 shown]
	ds_load_b128 v[157:160], v205
	ds_load_b128 v[161:164], v205 offset:704
	v_add_co_ci_u32_e64 v182, s1, 0, v81, s1
	v_add_co_u32 v185, s1, 0x4000, v80
	s_delay_alu instid0(VALU_DEP_1)
	v_add_co_ci_u32_e64 v186, s1, 0, v81, s1
	s_waitcnt vmcnt(5) lgkmcnt(1)
	v_mul_f64 v[82:83], v[159:160], v[135:136]
	v_mul_f64 v[135:136], v[157:158], v[135:136]
	s_waitcnt vmcnt(4) lgkmcnt(0)
	v_mul_f64 v[165:166], v[163:164], v[139:140]
	s_delay_alu instid0(VALU_DEP_3) | instskip(SKIP_1) | instid1(VALU_DEP_4)
	v_fma_f64 v[157:158], v[157:158], v[133:134], -v[82:83]
	v_mul_f64 v[82:83], v[161:162], v[139:140]
	v_fma_f64 v[159:160], v[159:160], v[133:134], v[135:136]
	ds_load_b128 v[133:136], v205 offset:1408
	v_fma_f64 v[161:162], v[161:162], v[137:138], -v[165:166]
	v_fma_f64 v[163:164], v[163:164], v[137:138], v[82:83]
	ds_load_b128 v[137:140], v205 offset:2112
	s_waitcnt vmcnt(3) lgkmcnt(1)
	v_mul_f64 v[82:83], v[135:136], v[143:144]
	v_mul_f64 v[143:144], v[133:134], v[143:144]
	s_waitcnt vmcnt(2) lgkmcnt(0)
	v_mul_f64 v[165:166], v[139:140], v[147:148]
	s_delay_alu instid0(VALU_DEP_3) | instskip(SKIP_1) | instid1(VALU_DEP_4)
	v_fma_f64 v[133:134], v[133:134], v[141:142], -v[82:83]
	v_mul_f64 v[82:83], v[137:138], v[147:148]
	v_fma_f64 v[135:136], v[135:136], v[141:142], v[143:144]
	ds_load_b128 v[141:144], v205 offset:2816
	v_fma_f64 v[137:138], v[137:138], v[145:146], -v[165:166]
	v_fma_f64 v[139:140], v[139:140], v[145:146], v[82:83]
	ds_load_b128 v[145:148], v205 offset:3520
	s_waitcnt vmcnt(1) lgkmcnt(1)
	v_mul_f64 v[82:83], v[143:144], v[151:152]
	v_mul_f64 v[151:152], v[141:142], v[151:152]
	s_delay_alu instid0(VALU_DEP_2) | instskip(NEXT) | instid1(VALU_DEP_2)
	v_fma_f64 v[141:142], v[141:142], v[149:150], -v[82:83]
	v_fma_f64 v[143:144], v[143:144], v[149:150], v[151:152]
	s_waitcnt vmcnt(0) lgkmcnt(0)
	v_mul_f64 v[82:83], v[147:148], v[155:156]
	global_load_b128 v[149:152], v[181:182], off offset:1088
	v_mul_f64 v[155:156], v[145:146], v[155:156]
	v_fma_f64 v[145:146], v[145:146], v[153:154], -v[82:83]
	s_delay_alu instid0(VALU_DEP_2)
	v_fma_f64 v[147:148], v[147:148], v[153:154], v[155:156]
	global_load_b128 v[153:156], v[181:182], off offset:1792
	ds_load_b128 v[165:168], v205 offset:4224
	ds_load_b128 v[169:172], v205 offset:4928
	s_waitcnt vmcnt(1) lgkmcnt(1)
	v_mul_f64 v[82:83], v[167:168], v[151:152]
	v_mul_f64 v[151:152], v[165:166], v[151:152]
	s_delay_alu instid0(VALU_DEP_2) | instskip(NEXT) | instid1(VALU_DEP_2)
	v_fma_f64 v[165:166], v[165:166], v[149:150], -v[82:83]
	v_fma_f64 v[167:168], v[167:168], v[149:150], v[151:152]
	s_waitcnt vmcnt(0) lgkmcnt(0)
	v_mul_f64 v[82:83], v[171:172], v[155:156]
	v_mul_f64 v[151:152], v[169:170], v[155:156]
	s_delay_alu instid0(VALU_DEP_2) | instskip(NEXT) | instid1(VALU_DEP_2)
	v_fma_f64 v[149:150], v[169:170], v[153:154], -v[82:83]
	v_fma_f64 v[151:152], v[171:172], v[153:154], v[151:152]
	s_clause 0x1
	global_load_b128 v[153:156], v[181:182], off offset:2496
	global_load_b128 v[169:172], v[181:182], off offset:3200
	ds_load_b128 v[173:176], v205 offset:5632
	ds_load_b128 v[177:180], v205 offset:6336
	s_waitcnt vmcnt(1) lgkmcnt(1)
	v_mul_f64 v[82:83], v[175:176], v[155:156]
	v_mul_f64 v[155:156], v[173:174], v[155:156]
	s_delay_alu instid0(VALU_DEP_2) | instskip(NEXT) | instid1(VALU_DEP_2)
	v_fma_f64 v[173:174], v[173:174], v[153:154], -v[82:83]
	v_fma_f64 v[175:176], v[175:176], v[153:154], v[155:156]
	s_waitcnt vmcnt(0) lgkmcnt(0)
	v_mul_f64 v[82:83], v[179:180], v[171:172]
	v_mul_f64 v[155:156], v[177:178], v[171:172]
	s_delay_alu instid0(VALU_DEP_2) | instskip(NEXT) | instid1(VALU_DEP_2)
	v_fma_f64 v[153:154], v[177:178], v[169:170], -v[82:83]
	v_fma_f64 v[155:156], v[179:180], v[169:170], v[155:156]
	s_clause 0x1
	global_load_b128 v[80:83], v[181:182], off offset:3904
	global_load_b128 v[169:172], v[185:186], off offset:512
	ds_load_b128 v[177:180], v205 offset:7040
	ds_load_b128 v[181:184], v205 offset:7744
	s_waitcnt vmcnt(1) lgkmcnt(1)
	v_mul_f64 v[187:188], v[179:180], v[82:83]
	v_mul_f64 v[82:83], v[177:178], v[82:83]
	s_delay_alu instid0(VALU_DEP_2) | instskip(NEXT) | instid1(VALU_DEP_2)
	v_fma_f64 v[177:178], v[177:178], v[80:81], -v[187:188]
	v_fma_f64 v[179:180], v[179:180], v[80:81], v[82:83]
	s_waitcnt vmcnt(0) lgkmcnt(0)
	v_mul_f64 v[80:81], v[183:184], v[171:172]
	v_mul_f64 v[82:83], v[181:182], v[171:172]
	s_delay_alu instid0(VALU_DEP_2) | instskip(NEXT) | instid1(VALU_DEP_2)
	v_fma_f64 v[80:81], v[181:182], v[169:170], -v[80:81]
	v_fma_f64 v[82:83], v[183:184], v[169:170], v[82:83]
	global_load_b128 v[169:172], v[185:186], off offset:1216
	ds_load_b128 v[181:184], v205 offset:8448
	s_waitcnt vmcnt(0) lgkmcnt(0)
	v_mul_f64 v[185:186], v[183:184], v[171:172]
	v_mul_f64 v[171:172], v[181:182], v[171:172]
	s_delay_alu instid0(VALU_DEP_2) | instskip(NEXT) | instid1(VALU_DEP_2)
	v_fma_f64 v[181:182], v[181:182], v[169:170], -v[185:186]
	v_fma_f64 v[183:184], v[183:184], v[169:170], v[171:172]
	ds_store_b128 v205, v[157:160]
	ds_store_b128 v205, v[161:164] offset:704
	ds_store_b128 v205, v[133:136] offset:1408
	;; [unrolled: 1-line block ×12, first 2 shown]
.LBB0_13:
	s_or_b32 exec_lo, exec_lo, s2
	s_waitcnt lgkmcnt(0)
	s_barrier
	buffer_gl0_inv
	s_and_saveexec_b32 s1, vcc_lo
	s_cbranch_execz .LBB0_15
; %bb.14:
	ds_load_b128 v[84:87], v205
	ds_load_b128 v[124:127], v205 offset:704
	ds_load_b128 v[120:123], v205 offset:1408
	;; [unrolled: 1-line block ×12, first 2 shown]
.LBB0_15:
	s_or_b32 exec_lo, exec_lo, s1
	s_waitcnt lgkmcnt(0)
	v_add_f64 v[193:194], v[126:127], -v[2:3]
	v_add_f64 v[197:198], v[2:3], v[126:127]
	s_mov_b32 s2, 0x1ea71119
	s_mov_b32 s10, 0x42a4c3d2
	s_mov_b32 s3, 0x3fe22d96
	s_mov_b32 s11, 0xbfea55e2
	v_add_f64 v[189:190], v[0:1], v[124:125]
	v_add_f64 v[199:200], v[124:125], -v[0:1]
	v_add_f64 v[139:140], v[122:123], -v[90:91]
	v_add_f64 v[133:134], v[90:91], v[122:123]
	s_mov_b32 s8, 0xb2365da1
	s_mov_b32 s18, 0x2ef20147
	s_mov_b32 s9, 0xbfd6b1d8
	s_mov_b32 s19, 0xbfedeba7
	v_add_f64 v[135:136], v[88:89], v[120:121]
	v_add_f64 v[143:144], v[120:121], -v[88:89]
	v_add_f64 v[147:148], v[130:131], -v[94:95]
	v_add_f64 v[137:138], v[130:131], v[94:95]
	s_mov_b32 s16, 0x93053d00
	s_mov_b32 s20, 0x4bc48dbf
	s_mov_b32 s17, 0xbfef11f4
	s_mov_b32 s21, 0xbfcea1e5
	v_add_f64 v[141:142], v[128:129], v[92:93]
	v_add_f64 v[151:152], v[128:129], -v[92:93]
	v_add_f64 v[145:146], v[118:119], v[98:99]
	v_add_f64 v[153:154], v[118:119], -v[98:99]
	s_mov_b32 s22, 0xd0032e0c
	s_mov_b32 s30, 0x24c2f84
	;; [unrolled: 1-line block ×4, first 2 shown]
	v_add_f64 v[149:150], v[116:117], v[96:97]
	v_add_f64 v[159:160], v[116:117], -v[96:97]
	v_add_f64 v[155:156], v[102:103], v[114:115]
	v_add_f64 v[161:162], v[114:115], -v[102:103]
	s_mov_b32 s24, 0xebaa3ed8
	s_mov_b32 s25, 0x3fbedb7d
	;; [unrolled: 1-line block ×4, first 2 shown]
	v_mul_f64 v[201:202], v[193:194], s[10:11]
	v_mul_f64 v[203:204], v[197:198], s[2:3]
	v_add_f64 v[167:168], v[112:113], -v[100:101]
	v_add_f64 v[169:170], v[110:111], -v[106:107]
	s_mov_b32 s28, 0xe00740e9
	s_mov_b32 s35, 0x3fddbe06
	;; [unrolled: 1-line block ×4, first 2 shown]
	v_mul_f64 v[173:174], v[139:140], s[18:19]
	v_mul_f64 v[175:176], v[133:134], s[8:9]
	s_barrier
	buffer_gl0_inv
	v_mul_f64 v[177:178], v[147:148], s[20:21]
	v_mul_f64 v[179:180], v[137:138], s[16:17]
	;; [unrolled: 1-line block ×6, first 2 shown]
	v_fma_f64 v[80:81], v[189:190], s[2:3], -v[201:202]
	v_fma_f64 v[82:83], v[199:200], s[10:11], v[203:204]
	v_mul_f64 v[191:192], v[169:170], s[34:35]
	v_fma_f64 v[157:158], v[135:136], s[8:9], -v[173:174]
	v_fma_f64 v[163:164], v[143:144], s[18:19], v[175:176]
	v_fma_f64 v[165:166], v[141:142], s[16:17], -v[177:178]
	v_fma_f64 v[171:172], v[151:152], s[20:21], v[179:180]
	v_fma_f64 v[211:212], v[159:160], s[30:31], v[183:184]
	v_fma_f64 v[209:210], v[149:150], s[22:23], -v[181:182]
	v_fma_f64 v[215:216], v[167:168], s[26:27], v[187:188]
	v_add_f64 v[80:81], v[84:85], v[80:81]
	v_add_f64 v[82:83], v[86:87], v[82:83]
	s_delay_alu instid0(VALU_DEP_2) | instskip(NEXT) | instid1(VALU_DEP_2)
	v_add_f64 v[80:81], v[157:158], v[80:81]
	v_add_f64 v[82:83], v[163:164], v[82:83]
	;; [unrolled: 1-line block ×4, first 2 shown]
	s_delay_alu instid0(VALU_DEP_4) | instskip(NEXT) | instid1(VALU_DEP_4)
	v_add_f64 v[80:81], v[165:166], v[80:81]
	v_add_f64 v[82:83], v[171:172], v[82:83]
	;; [unrolled: 1-line block ×3, first 2 shown]
	v_add_f64 v[171:172], v[108:109], -v[104:105]
	v_mul_f64 v[195:196], v[163:164], s[28:29]
	v_fma_f64 v[213:214], v[157:158], s[24:25], -v[185:186]
	v_add_f64 v[80:81], v[209:210], v[80:81]
	v_add_f64 v[82:83], v[211:212], v[82:83]
	v_fma_f64 v[209:210], v[165:166], s[28:29], -v[191:192]
	v_fma_f64 v[211:212], v[171:172], s[34:35], v[195:196]
	s_delay_alu instid0(VALU_DEP_4) | instskip(NEXT) | instid1(VALU_DEP_4)
	v_add_f64 v[80:81], v[213:214], v[80:81]
	v_add_f64 v[82:83], v[215:216], v[82:83]
	s_delay_alu instid0(VALU_DEP_2) | instskip(NEXT) | instid1(VALU_DEP_2)
	v_add_f64 v[80:81], v[209:210], v[80:81]
	v_add_f64 v[82:83], v[211:212], v[82:83]
	s_and_saveexec_b32 s1, vcc_lo
	s_cbranch_execz .LBB0_17
; %bb.16:
	v_add_f64 v[126:127], v[86:87], v[126:127]
	v_add_f64 v[124:125], v[84:85], v[124:125]
	s_mov_b32 s37, 0xbfe5384d
	s_mov_b32 s36, s30
	v_mul_f64 v[211:212], v[193:194], s[18:19]
	v_mul_f64 v[213:214], v[193:194], s[36:37]
	s_mov_b32 s39, 0x3fcea1e5
	s_mov_b32 s38, s20
	s_delay_alu instid0(VALU_DEP_4) | instskip(NEXT) | instid1(VALU_DEP_4)
	v_add_f64 v[122:123], v[122:123], v[126:127]
	v_add_f64 v[120:121], v[120:121], v[124:125]
	v_mul_f64 v[124:125], v[199:200], s[36:37]
	v_fma_f64 v[219:220], v[189:190], s[8:9], -v[211:212]
	v_fma_f64 v[211:212], v[189:190], s[8:9], v[211:212]
	v_fma_f64 v[221:222], v[189:190], s[22:23], -v[213:214]
	v_fma_f64 v[213:214], v[189:190], s[22:23], v[213:214]
	v_add_f64 v[122:123], v[130:131], v[122:123]
	v_add_f64 v[120:121], v[128:129], v[120:121]
	;; [unrolled: 1-line block ×7, first 2 shown]
	v_mul_f64 v[120:121], v[159:160], s[34:35]
	v_mul_f64 v[122:123], v[153:154], s[34:35]
	s_delay_alu instid0(VALU_DEP_4) | instskip(NEXT) | instid1(VALU_DEP_4)
	v_add_f64 v[114:115], v[114:115], v[118:119]
	v_add_f64 v[112:113], v[112:113], v[116:117]
	v_mul_f64 v[116:117], v[167:168], s[34:35]
	v_mul_f64 v[118:119], v[161:162], s[34:35]
	s_delay_alu instid0(VALU_DEP_4) | instskip(NEXT) | instid1(VALU_DEP_4)
	v_add_f64 v[110:111], v[110:111], v[114:115]
	v_add_f64 v[108:109], v[108:109], v[112:113]
	;; [unrolled: 5-line block ×4, first 2 shown]
	v_mul_f64 v[104:105], v[151:152], s[34:35]
	v_mul_f64 v[106:107], v[147:148], s[34:35]
	v_fma_f64 v[130:131], v[197:198], s[16:17], v[108:109]
	v_fma_f64 v[108:109], v[197:198], s[16:17], -v[108:109]
	v_add_f64 v[98:99], v[98:99], v[102:103]
	v_add_f64 v[96:97], v[96:97], v[100:101]
	v_mul_f64 v[100:101], v[167:168], s[26:27]
	v_mul_f64 v[102:103], v[171:172], s[34:35]
	v_add_f64 v[130:131], v[86:87], v[130:131]
	v_add_f64 v[108:109], v[86:87], v[108:109]
	;; [unrolled: 1-line block ×4, first 2 shown]
	v_mul_f64 v[96:97], v[143:144], s[34:35]
	v_mul_f64 v[98:99], v[139:140], s[34:35]
	s_mov_b32 s35, 0xbfddbe06
	v_add_f64 v[100:101], v[187:188], -v[100:101]
	v_mul_f64 v[128:129], v[199:200], s[34:35]
	v_add_f64 v[102:103], v[195:196], -v[102:103]
	v_add_f64 v[90:91], v[90:91], v[94:95]
	v_add_f64 v[88:89], v[88:89], v[92:93]
	v_mul_f64 v[92:93], v[171:172], s[26:27]
	v_mul_f64 v[94:95], v[169:170], s[26:27]
	s_mov_b32 s27, 0xbfefc445
	s_delay_alu instid0(SALU_CYCLE_1)
	v_mul_f64 v[126:127], v[199:200], s[26:27]
	v_fma_f64 v[209:210], v[197:198], s[28:29], v[128:129]
	v_fma_f64 v[128:129], v[197:198], s[28:29], -v[128:129]
	v_mul_f64 v[215:216], v[193:194], s[26:27]
	v_add_f64 v[2:3], v[2:3], v[90:91]
	v_add_f64 v[0:1], v[0:1], v[88:89]
	v_mul_f64 v[88:89], v[199:200], s[10:11]
	v_mul_f64 v[90:91], v[189:190], s[2:3]
	v_fma_f64 v[199:200], v[197:198], s[8:9], v[110:111]
	v_fma_f64 v[110:111], v[197:198], s[8:9], -v[110:111]
	v_add_f64 v[209:210], v[86:87], v[209:210]
	v_add_f64 v[128:129], v[86:87], v[128:129]
	v_fma_f64 v[223:224], v[189:190], s[24:25], -v[215:216]
	v_fma_f64 v[215:216], v[189:190], s[24:25], v[215:216]
	v_add_f64 v[88:89], v[203:204], -v[88:89]
	v_add_f64 v[90:91], v[90:91], v[201:202]
	v_fma_f64 v[201:202], v[197:198], s[22:23], v[124:125]
	v_fma_f64 v[124:125], v[197:198], s[22:23], -v[124:125]
	v_fma_f64 v[203:204], v[197:198], s[24:25], v[126:127]
	v_fma_f64 v[126:127], v[197:198], s[24:25], -v[126:127]
	v_mul_f64 v[197:198], v[193:194], s[20:21]
	v_mul_f64 v[193:194], v[193:194], s[34:35]
	v_add_f64 v[223:224], v[84:85], v[223:224]
	v_add_f64 v[215:216], v[84:85], v[215:216]
	;; [unrolled: 1-line block ×4, first 2 shown]
	s_mov_b32 s35, 0x3fea55e2
	s_mov_b32 s34, s10
	v_add_f64 v[227:228], v[84:85], v[90:91]
	v_add_f64 v[201:202], v[86:87], v[201:202]
	;; [unrolled: 1-line block ×5, first 2 shown]
	v_fma_f64 v[217:218], v[189:190], s[16:17], -v[197:198]
	v_fma_f64 v[197:198], v[189:190], s[16:17], v[197:198]
	v_fma_f64 v[225:226], v[189:190], s[28:29], -v[193:194]
	v_fma_f64 v[189:190], v[189:190], s[28:29], v[193:194]
	s_delay_alu instid0(VALU_DEP_4) | instskip(NEXT) | instid1(VALU_DEP_4)
	v_add_f64 v[193:194], v[84:85], v[217:218]
	v_add_f64 v[197:198], v[84:85], v[197:198]
	;; [unrolled: 1-line block ×6, first 2 shown]
	v_fma_f64 v[84:85], v[133:134], s[28:29], v[96:97]
	v_mul_f64 v[88:89], v[151:152], s[36:37]
	v_fma_f64 v[86:87], v[135:136], s[28:29], -v[98:99]
	v_fma_f64 v[96:97], v[133:134], s[28:29], -v[96:97]
	v_fma_f64 v[98:99], v[135:136], s[28:29], v[98:99]
	v_add_f64 v[84:85], v[84:85], v[130:131]
	v_fma_f64 v[90:91], v[137:138], s[22:23], v[88:89]
	v_add_f64 v[86:87], v[86:87], v[193:194]
	v_add_f64 v[96:97], v[96:97], v[108:109]
	v_fma_f64 v[88:89], v[137:138], s[22:23], -v[88:89]
	v_add_f64 v[98:99], v[98:99], v[197:198]
	v_fma_f64 v[108:109], v[137:138], s[28:29], v[104:105]
	v_fma_f64 v[104:105], v[137:138], s[28:29], -v[104:105]
	v_add_f64 v[84:85], v[90:91], v[84:85]
	v_mul_f64 v[90:91], v[147:148], s[36:37]
	v_add_f64 v[88:89], v[88:89], v[96:97]
	s_delay_alu instid0(VALU_DEP_2) | instskip(SKIP_1) | instid1(VALU_DEP_2)
	v_fma_f64 v[130:131], v[141:142], s[22:23], -v[90:91]
	v_fma_f64 v[90:91], v[141:142], s[22:23], v[90:91]
	v_add_f64 v[86:87], v[130:131], v[86:87]
	v_mul_f64 v[130:131], v[159:160], s[34:35]
	s_delay_alu instid0(VALU_DEP_3) | instskip(SKIP_1) | instid1(VALU_DEP_3)
	v_add_f64 v[90:91], v[90:91], v[98:99]
	v_mul_f64 v[98:99], v[139:140], s[30:31]
	v_fma_f64 v[193:194], v[145:146], s[2:3], v[130:131]
	v_fma_f64 v[96:97], v[145:146], s[2:3], -v[130:131]
	s_delay_alu instid0(VALU_DEP_2) | instskip(SKIP_1) | instid1(VALU_DEP_3)
	v_add_f64 v[84:85], v[193:194], v[84:85]
	v_mul_f64 v[193:194], v[153:154], s[34:35]
	v_add_f64 v[88:89], v[96:97], v[88:89]
	s_delay_alu instid0(VALU_DEP_2) | instskip(SKIP_1) | instid1(VALU_DEP_2)
	v_fma_f64 v[229:230], v[149:150], s[2:3], -v[193:194]
	v_fma_f64 v[96:97], v[149:150], s[2:3], v[193:194]
	v_add_f64 v[86:87], v[229:230], v[86:87]
	v_mul_f64 v[229:230], v[167:168], s[18:19]
	s_delay_alu instid0(VALU_DEP_3) | instskip(NEXT) | instid1(VALU_DEP_2)
	v_add_f64 v[90:91], v[96:97], v[90:91]
	v_fma_f64 v[231:232], v[155:156], s[8:9], v[229:230]
	v_fma_f64 v[96:97], v[155:156], s[8:9], -v[229:230]
	v_mul_f64 v[229:230], v[169:170], s[34:35]
	s_delay_alu instid0(VALU_DEP_3) | instskip(SKIP_1) | instid1(VALU_DEP_4)
	v_add_f64 v[84:85], v[231:232], v[84:85]
	v_mul_f64 v[231:232], v[161:162], s[18:19]
	v_add_f64 v[88:89], v[96:97], v[88:89]
	s_delay_alu instid0(VALU_DEP_2) | instskip(SKIP_1) | instid1(VALU_DEP_2)
	v_fma_f64 v[233:234], v[157:158], s[8:9], -v[231:232]
	v_fma_f64 v[96:97], v[157:158], s[8:9], v[231:232]
	v_add_f64 v[233:234], v[233:234], v[86:87]
	v_fma_f64 v[86:87], v[163:164], s[24:25], v[92:93]
	s_delay_alu instid0(VALU_DEP_3) | instskip(SKIP_2) | instid1(VALU_DEP_4)
	v_add_f64 v[96:97], v[96:97], v[90:91]
	v_fma_f64 v[90:91], v[163:164], s[24:25], -v[92:93]
	v_fma_f64 v[92:93], v[165:166], s[24:25], v[94:95]
	v_add_f64 v[86:87], v[86:87], v[84:85]
	v_fma_f64 v[84:85], v[165:166], s[24:25], -v[94:95]
	s_delay_alu instid0(VALU_DEP_4) | instskip(NEXT) | instid1(VALU_DEP_4)
	v_add_f64 v[90:91], v[90:91], v[88:89]
	v_add_f64 v[88:89], v[92:93], v[96:97]
	v_mul_f64 v[96:97], v[143:144], s[30:31]
	v_fma_f64 v[94:95], v[135:136], s[22:23], -v[98:99]
	v_fma_f64 v[98:99], v[135:136], s[22:23], v[98:99]
	v_add_f64 v[84:85], v[84:85], v[233:234]
	s_delay_alu instid0(VALU_DEP_4) | instskip(NEXT) | instid1(VALU_DEP_4)
	v_fma_f64 v[92:93], v[133:134], s[22:23], v[96:97]
	v_add_f64 v[94:95], v[94:95], v[217:218]
	v_fma_f64 v[96:97], v[133:134], s[22:23], -v[96:97]
	v_add_f64 v[98:99], v[98:99], v[211:212]
	v_mul_f64 v[217:218], v[171:172], s[34:35]
	v_add_f64 v[92:93], v[92:93], v[199:200]
	s_delay_alu instid0(VALU_DEP_4) | instskip(SKIP_1) | instid1(VALU_DEP_3)
	v_add_f64 v[96:97], v[96:97], v[110:111]
	v_mul_f64 v[110:111], v[135:136], s[8:9]
	v_add_f64 v[92:93], v[108:109], v[92:93]
	v_fma_f64 v[108:109], v[141:142], s[28:29], -v[106:107]
	s_delay_alu instid0(VALU_DEP_4)
	v_add_f64 v[96:97], v[104:105], v[96:97]
	v_fma_f64 v[104:105], v[141:142], s[28:29], v[106:107]
	v_fma_f64 v[106:107], v[165:166], s[2:3], v[229:230]
	v_add_f64 v[110:111], v[110:111], v[173:174]
	v_mul_f64 v[173:174], v[149:150], s[22:23]
	v_add_f64 v[94:95], v[108:109], v[94:95]
	v_mul_f64 v[108:109], v[159:160], s[26:27]
	v_add_f64 v[98:99], v[104:105], v[98:99]
	v_add_f64 v[110:111], v[110:111], v[227:228]
	;; [unrolled: 1-line block ×3, first 2 shown]
	v_mul_f64 v[181:182], v[169:170], s[18:19]
	v_fma_f64 v[130:131], v[145:146], s[24:25], v[108:109]
	v_fma_f64 v[104:105], v[145:146], s[24:25], -v[108:109]
	v_mul_f64 v[108:109], v[143:144], s[18:19]
	s_delay_alu instid0(VALU_DEP_3) | instskip(SKIP_1) | instid1(VALU_DEP_4)
	v_add_f64 v[92:93], v[130:131], v[92:93]
	v_mul_f64 v[130:131], v[153:154], s[26:27]
	v_add_f64 v[96:97], v[104:105], v[96:97]
	s_delay_alu instid0(VALU_DEP_4) | instskip(SKIP_1) | instid1(VALU_DEP_4)
	v_add_f64 v[108:109], v[175:176], -v[108:109]
	v_mul_f64 v[175:176], v[159:160], s[38:39]
	v_fma_f64 v[193:194], v[149:150], s[24:25], -v[130:131]
	v_fma_f64 v[104:105], v[149:150], s[24:25], v[130:131]
	v_mul_f64 v[130:131], v[141:142], s[16:17]
	v_add_f64 v[108:109], v[108:109], v[219:220]
	s_delay_alu instid0(VALU_DEP_4) | instskip(SKIP_4) | instid1(VALU_DEP_4)
	v_add_f64 v[94:95], v[193:194], v[94:95]
	v_mul_f64 v[193:194], v[167:168], s[38:39]
	v_add_f64 v[98:99], v[104:105], v[98:99]
	v_add_f64 v[130:131], v[130:131], v[177:178]
	v_mul_f64 v[177:178], v[153:154], s[38:39]
	v_fma_f64 v[197:198], v[155:156], s[16:17], v[193:194]
	v_fma_f64 v[104:105], v[155:156], s[16:17], -v[193:194]
	s_delay_alu instid0(VALU_DEP_2) | instskip(SKIP_1) | instid1(VALU_DEP_3)
	v_add_f64 v[92:93], v[197:198], v[92:93]
	v_mul_f64 v[197:198], v[161:162], s[38:39]
	v_add_f64 v[96:97], v[104:105], v[96:97]
	s_delay_alu instid0(VALU_DEP_2) | instskip(SKIP_2) | instid1(VALU_DEP_3)
	v_fma_f64 v[104:105], v[157:158], s[16:17], v[197:198]
	v_fma_f64 v[199:200], v[157:158], s[16:17], -v[197:198]
	v_mul_f64 v[197:198], v[171:172], s[36:37]
	v_add_f64 v[104:105], v[104:105], v[98:99]
	v_fma_f64 v[98:99], v[163:164], s[2:3], -v[217:218]
	s_delay_alu instid0(VALU_DEP_4) | instskip(SKIP_1) | instid1(VALU_DEP_3)
	v_add_f64 v[199:200], v[199:200], v[94:95]
	v_fma_f64 v[94:95], v[163:164], s[2:3], v[217:218]
	v_add_f64 v[98:99], v[98:99], v[96:97]
	v_add_f64 v[96:97], v[106:107], v[104:105]
	v_mul_f64 v[106:107], v[151:152], s[20:21]
	v_mul_f64 v[104:105], v[159:160], s[30:31]
	s_mov_b32 s31, 0x3fedeba7
	s_mov_b32 s30, s18
	v_add_f64 v[94:95], v[94:95], v[92:93]
	v_fma_f64 v[92:93], v[165:166], s[2:3], -v[229:230]
	s_delay_alu instid0(VALU_DEP_4) | instskip(NEXT) | instid1(VALU_DEP_4)
	v_add_f64 v[106:107], v[179:180], -v[106:107]
	v_add_f64 v[104:105], v[183:184], -v[104:105]
	v_mul_f64 v[179:180], v[171:172], s[18:19]
	v_mul_f64 v[183:184], v[143:144], s[20:21]
	v_add_f64 v[92:93], v[92:93], v[199:200]
	v_mul_f64 v[199:200], v[169:170], s[36:37]
	v_add_f64 v[106:107], v[106:107], v[108:109]
	v_add_f64 v[108:109], v[130:131], v[110:111]
	v_mul_f64 v[110:111], v[157:158], s[24:25]
	v_mul_f64 v[130:131], v[151:152], s[10:11]
	s_delay_alu instid0(VALU_DEP_4) | instskip(NEXT) | instid1(VALU_DEP_4)
	v_add_f64 v[104:105], v[104:105], v[106:107]
	v_add_f64 v[106:107], v[173:174], v[108:109]
	s_delay_alu instid0(VALU_DEP_4)
	v_add_f64 v[110:111], v[110:111], v[185:186]
	v_mul_f64 v[108:109], v[165:166], s[28:29]
	v_mul_f64 v[173:174], v[147:148], s[10:11]
	;; [unrolled: 1-line block ×3, first 2 shown]
	v_add_f64 v[100:101], v[100:101], v[104:105]
	v_add_f64 v[104:105], v[110:111], v[106:107]
	;; [unrolled: 1-line block ×3, first 2 shown]
	v_fma_f64 v[106:107], v[135:136], s[24:25], -v[114:115]
	v_fma_f64 v[114:115], v[135:136], s[24:25], v[114:115]
	v_fma_f64 v[187:188], v[137:138], s[8:9], -v[185:186]
	v_add_f64 v[102:103], v[102:103], v[100:101]
	v_add_f64 v[100:101], v[108:109], v[104:105]
	v_fma_f64 v[104:105], v[133:134], s[24:25], v[112:113]
	v_fma_f64 v[108:109], v[137:138], s[2:3], v[130:131]
	v_add_f64 v[106:107], v[106:107], v[221:222]
	v_fma_f64 v[112:113], v[133:134], s[24:25], -v[112:113]
	v_add_f64 v[114:115], v[114:115], v[213:214]
	v_add_f64 v[104:105], v[104:105], v[201:202]
	s_delay_alu instid0(VALU_DEP_3) | instskip(SKIP_1) | instid1(VALU_DEP_3)
	v_add_f64 v[112:113], v[112:113], v[124:125]
	v_fma_f64 v[124:125], v[137:138], s[2:3], -v[130:131]
	v_add_f64 v[104:105], v[108:109], v[104:105]
	v_fma_f64 v[108:109], v[141:142], s[2:3], -v[173:174]
	s_delay_alu instid0(VALU_DEP_3) | instskip(SKIP_1) | instid1(VALU_DEP_3)
	v_add_f64 v[112:113], v[124:125], v[112:113]
	v_fma_f64 v[124:125], v[141:142], s[2:3], v[173:174]
	v_add_f64 v[106:107], v[108:109], v[106:107]
	v_fma_f64 v[108:109], v[145:146], s[16:17], v[175:176]
	s_delay_alu instid0(VALU_DEP_3) | instskip(SKIP_1) | instid1(VALU_DEP_3)
	v_add_f64 v[114:115], v[124:125], v[114:115]
	v_fma_f64 v[124:125], v[145:146], s[16:17], -v[175:176]
	v_add_f64 v[104:105], v[108:109], v[104:105]
	v_fma_f64 v[108:109], v[149:150], s[16:17], -v[177:178]
	s_delay_alu instid0(VALU_DEP_3) | instskip(SKIP_1) | instid1(VALU_DEP_3)
	v_add_f64 v[112:113], v[124:125], v[112:113]
	v_fma_f64 v[124:125], v[149:150], s[16:17], v[177:178]
	v_add_f64 v[106:107], v[108:109], v[106:107]
	v_fma_f64 v[108:109], v[155:156], s[28:29], v[116:117]
	v_fma_f64 v[116:117], v[155:156], s[28:29], -v[116:117]
	s_delay_alu instid0(VALU_DEP_4) | instskip(SKIP_1) | instid1(VALU_DEP_4)
	v_add_f64 v[114:115], v[124:125], v[114:115]
	v_fma_f64 v[124:125], v[137:138], s[8:9], v[185:186]
	v_add_f64 v[104:105], v[108:109], v[104:105]
	v_fma_f64 v[108:109], v[157:158], s[28:29], -v[118:119]
	v_add_f64 v[112:113], v[116:117], v[112:113]
	v_fma_f64 v[116:117], v[157:158], s[28:29], v[118:119]
	v_fma_f64 v[118:119], v[165:166], s[8:9], v[181:182]
	s_delay_alu instid0(VALU_DEP_4) | instskip(SKIP_1) | instid1(VALU_DEP_4)
	v_add_f64 v[108:109], v[108:109], v[106:107]
	v_fma_f64 v[106:107], v[163:164], s[8:9], v[179:180]
	v_add_f64 v[116:117], v[116:117], v[114:115]
	v_fma_f64 v[114:115], v[163:164], s[8:9], -v[179:180]
	s_delay_alu instid0(VALU_DEP_3) | instskip(SKIP_1) | instid1(VALU_DEP_3)
	v_add_f64 v[106:107], v[106:107], v[104:105]
	v_fma_f64 v[104:105], v[165:166], s[8:9], -v[181:182]
	v_add_f64 v[114:115], v[114:115], v[112:113]
	v_add_f64 v[112:113], v[118:119], v[116:117]
	v_fma_f64 v[116:117], v[133:134], s[16:17], v[183:184]
	s_delay_alu instid0(VALU_DEP_4) | instskip(SKIP_1) | instid1(VALU_DEP_3)
	v_add_f64 v[104:105], v[104:105], v[108:109]
	v_fma_f64 v[108:109], v[133:134], s[16:17], -v[183:184]
	v_add_f64 v[116:117], v[116:117], v[203:204]
	s_delay_alu instid0(VALU_DEP_2) | instskip(SKIP_1) | instid1(VALU_DEP_3)
	v_add_f64 v[108:109], v[108:109], v[126:127]
	v_mul_f64 v[126:127], v[139:140], s[20:21]
	v_add_f64 v[116:117], v[124:125], v[116:117]
	s_delay_alu instid0(VALU_DEP_3) | instskip(NEXT) | instid1(VALU_DEP_3)
	v_add_f64 v[108:109], v[187:188], v[108:109]
	v_fma_f64 v[110:111], v[135:136], s[16:17], v[126:127]
	v_mul_f64 v[187:188], v[147:148], s[30:31]
	v_fma_f64 v[118:119], v[135:136], s[16:17], -v[126:127]
	v_mul_f64 v[126:127], v[139:140], s[10:11]
	s_delay_alu instid0(VALU_DEP_4) | instskip(NEXT) | instid1(VALU_DEP_4)
	v_add_f64 v[110:111], v[110:111], v[215:216]
	v_fma_f64 v[191:192], v[141:142], s[8:9], v[187:188]
	s_delay_alu instid0(VALU_DEP_4) | instskip(SKIP_1) | instid1(VALU_DEP_3)
	v_add_f64 v[118:119], v[118:119], v[223:224]
	v_fma_f64 v[124:125], v[141:142], s[8:9], -v[187:188]
	v_add_f64 v[110:111], v[191:192], v[110:111]
	v_fma_f64 v[191:192], v[145:146], s[28:29], -v[120:121]
	v_fma_f64 v[120:121], v[145:146], s[28:29], v[120:121]
	s_delay_alu instid0(VALU_DEP_4) | instskip(SKIP_1) | instid1(VALU_DEP_4)
	v_add_f64 v[118:119], v[124:125], v[118:119]
	v_mul_f64 v[124:125], v[143:144], s[10:11]
	v_add_f64 v[108:109], v[191:192], v[108:109]
	v_fma_f64 v[191:192], v[149:150], s[28:29], v[122:123]
	v_add_f64 v[116:117], v[120:121], v[116:117]
	v_fma_f64 v[120:121], v[149:150], s[28:29], -v[122:123]
	v_fma_f64 v[122:123], v[165:166], s[22:23], -v[199:200]
	s_delay_alu instid0(VALU_DEP_4) | instskip(SKIP_1) | instid1(VALU_DEP_4)
	v_add_f64 v[110:111], v[191:192], v[110:111]
	v_mul_f64 v[191:192], v[167:168], s[10:11]
	v_add_f64 v[118:119], v[120:121], v[118:119]
	s_delay_alu instid0(VALU_DEP_2) | instskip(SKIP_1) | instid1(VALU_DEP_2)
	v_fma_f64 v[193:194], v[155:156], s[2:3], -v[191:192]
	v_fma_f64 v[120:121], v[155:156], s[2:3], v[191:192]
	v_add_f64 v[108:109], v[193:194], v[108:109]
	v_mul_f64 v[193:194], v[161:162], s[10:11]
	s_delay_alu instid0(VALU_DEP_3) | instskip(NEXT) | instid1(VALU_DEP_2)
	v_add_f64 v[116:117], v[120:121], v[116:117]
	v_fma_f64 v[120:121], v[157:158], s[2:3], -v[193:194]
	v_fma_f64 v[195:196], v[157:158], s[2:3], v[193:194]
	s_delay_alu instid0(VALU_DEP_2) | instskip(SKIP_1) | instid1(VALU_DEP_3)
	v_add_f64 v[120:121], v[120:121], v[118:119]
	v_fma_f64 v[118:119], v[163:164], s[22:23], v[197:198]
	v_add_f64 v[195:196], v[195:196], v[110:111]
	v_fma_f64 v[110:111], v[163:164], s[22:23], -v[197:198]
	s_delay_alu instid0(VALU_DEP_3)
	v_add_f64 v[118:119], v[118:119], v[116:117]
	v_add_f64 v[116:117], v[122:123], v[120:121]
	v_fma_f64 v[120:121], v[133:134], s[2:3], -v[124:125]
	v_fma_f64 v[122:123], v[135:136], s[2:3], v[126:127]
	v_fma_f64 v[124:125], v[133:134], s[2:3], v[124:125]
	v_fma_f64 v[126:127], v[135:136], s[2:3], -v[126:127]
	v_add_f64 v[110:111], v[110:111], v[108:109]
	v_fma_f64 v[108:109], v[165:166], s[22:23], v[199:200]
	v_add_f64 v[120:121], v[120:121], v[128:129]
	v_mul_f64 v[128:129], v[151:152], s[26:27]
	v_add_f64 v[122:123], v[122:123], v[189:190]
	v_add_f64 v[124:125], v[124:125], v[209:210]
	;; [unrolled: 1-line block ×4, first 2 shown]
	v_fma_f64 v[130:131], v[137:138], s[24:25], -v[128:129]
	v_fma_f64 v[128:129], v[137:138], s[24:25], v[128:129]
	s_delay_alu instid0(VALU_DEP_2) | instskip(SKIP_1) | instid1(VALU_DEP_3)
	v_add_f64 v[120:121], v[130:131], v[120:121]
	v_mul_f64 v[130:131], v[147:148], s[26:27]
	v_add_f64 v[124:125], v[128:129], v[124:125]
	s_delay_alu instid0(VALU_DEP_2) | instskip(SKIP_1) | instid1(VALU_DEP_2)
	v_fma_f64 v[139:140], v[141:142], s[24:25], v[130:131]
	v_fma_f64 v[130:131], v[141:142], s[24:25], -v[130:131]
	v_add_f64 v[122:123], v[139:140], v[122:123]
	v_mul_f64 v[139:140], v[159:160], s[18:19]
	v_mul_f64 v[159:160], v[171:172], s[20:21]
	s_delay_alu instid0(VALU_DEP_4) | instskip(NEXT) | instid1(VALU_DEP_3)
	v_add_f64 v[126:127], v[130:131], v[126:127]
	v_fma_f64 v[143:144], v[145:146], s[8:9], -v[139:140]
	v_fma_f64 v[133:134], v[145:146], s[8:9], v[139:140]
	s_delay_alu instid0(VALU_DEP_2) | instskip(SKIP_1) | instid1(VALU_DEP_3)
	v_add_f64 v[120:121], v[143:144], v[120:121]
	v_mul_f64 v[143:144], v[153:154], s[18:19]
	v_add_f64 v[124:125], v[133:134], v[124:125]
	v_fma_f64 v[133:134], v[163:164], s[16:17], v[159:160]
	s_delay_alu instid0(VALU_DEP_3) | instskip(SKIP_1) | instid1(VALU_DEP_2)
	v_fma_f64 v[147:148], v[149:150], s[8:9], v[143:144]
	v_fma_f64 v[135:136], v[149:150], s[8:9], -v[143:144]
	v_add_f64 v[122:123], v[147:148], v[122:123]
	v_mul_f64 v[147:148], v[167:168], s[36:37]
	s_delay_alu instid0(VALU_DEP_3) | instskip(NEXT) | instid1(VALU_DEP_2)
	v_add_f64 v[126:127], v[135:136], v[126:127]
	v_fma_f64 v[151:152], v[155:156], s[22:23], -v[147:148]
	v_fma_f64 v[128:129], v[155:156], s[22:23], v[147:148]
	s_delay_alu instid0(VALU_DEP_2) | instskip(SKIP_2) | instid1(VALU_DEP_4)
	v_add_f64 v[120:121], v[151:152], v[120:121]
	v_mul_f64 v[151:152], v[161:162], s[36:37]
	v_mul_f64 v[161:162], v[169:170], s[20:21]
	v_add_f64 v[124:125], v[128:129], v[124:125]
	s_delay_alu instid0(VALU_DEP_3) | instskip(SKIP_1) | instid1(VALU_DEP_4)
	v_fma_f64 v[153:154], v[157:158], s[22:23], v[151:152]
	v_fma_f64 v[130:131], v[157:158], s[22:23], -v[151:152]
	v_fma_f64 v[135:136], v[165:166], s[16:17], -v[161:162]
	s_delay_alu instid0(VALU_DEP_3) | instskip(SKIP_1) | instid1(VALU_DEP_4)
	v_add_f64 v[153:154], v[153:154], v[122:123]
	v_fma_f64 v[122:123], v[163:164], s[16:17], -v[159:160]
	v_add_f64 v[128:129], v[130:131], v[126:127]
	v_add_f64 v[126:127], v[133:134], v[124:125]
	s_delay_alu instid0(VALU_DEP_3) | instskip(SKIP_1) | instid1(VALU_DEP_4)
	v_add_f64 v[122:123], v[122:123], v[120:121]
	v_fma_f64 v[120:121], v[165:166], s[16:17], v[161:162]
	v_add_f64 v[124:125], v[135:136], v[128:129]
	v_and_b32_e32 v128, 0xffff, v207
	s_delay_alu instid0(VALU_DEP_1) | instskip(NEXT) | instid1(VALU_DEP_4)
	v_lshlrev_b32_e32 v128, 4, v128
	v_add_f64 v[120:121], v[120:121], v[153:154]
	ds_store_b128 v128, v[88:91] offset:96
	ds_store_b128 v128, v[84:87] offset:112
	;; [unrolled: 1-line block ×11, first 2 shown]
	ds_store_b128 v128, v[0:3]
	ds_store_b128 v128, v[124:127] offset:192
.LBB0_17:
	s_or_b32 exec_lo, exec_lo, s1
	s_waitcnt lgkmcnt(0)
	s_barrier
	buffer_gl0_inv
	ds_load_b128 v[0:3], v205 offset:832
	ds_load_b128 v[84:87], v205 offset:8320
	;; [unrolled: 1-line block ×9, first 2 shown]
	s_mov_b32 s2, 0xf8bb580b
	s_mov_b32 s8, 0x8764f0ba
	;; [unrolled: 1-line block ×15, first 2 shown]
	s_waitcnt lgkmcnt(7)
	v_mul_f64 v[118:119], v[6:7], v[84:85]
	s_waitcnt lgkmcnt(6)
	v_mul_f64 v[120:121], v[42:43], v[88:89]
	v_mul_f64 v[116:117], v[38:39], v[2:3]
	v_mul_f64 v[38:39], v[38:39], v[0:1]
	s_waitcnt lgkmcnt(5)
	v_mul_f64 v[122:123], v[30:31], v[92:93]
	v_mul_f64 v[42:43], v[42:43], v[90:91]
	s_waitcnt lgkmcnt(4)
	v_mul_f64 v[126:127], v[34:35], v[96:97]
	s_waitcnt lgkmcnt(3)
	v_mul_f64 v[128:129], v[26:27], v[100:101]
	v_mul_f64 v[130:131], v[6:7], v[86:87]
	;; [unrolled: 1-line block ×5, first 2 shown]
	s_waitcnt lgkmcnt(1)
	v_mul_f64 v[141:142], v[14:15], v[110:111]
	v_mul_f64 v[143:144], v[14:15], v[108:109]
	;; [unrolled: 1-line block ×4, first 2 shown]
	s_waitcnt lgkmcnt(0)
	v_mul_f64 v[137:138], v[18:19], v[114:115]
	v_mul_f64 v[139:140], v[18:19], v[112:113]
	s_mov_b32 s31, 0xbfe4f49e
	s_mov_b32 s36, 0xfd768dbf
	;; [unrolled: 1-line block ×15, first 2 shown]
	v_fma_f64 v[14:15], v[4:5], v[86:87], -v[118:119]
	v_fma_f64 v[86:87], v[40:41], v[90:91], -v[120:121]
	v_fma_f64 v[116:117], v[36:37], v[0:1], v[116:117]
	v_fma_f64 v[124:125], v[36:37], v[2:3], -v[38:39]
	ds_load_b128 v[36:39], v205 offset:4992
	ds_load_b128 v[0:3], v205
	v_fma_f64 v[6:7], v[28:29], v[94:95], -v[122:123]
	v_fma_f64 v[40:41], v[40:41], v[88:89], v[42:43]
	v_fma_f64 v[90:91], v[32:33], v[98:99], -v[126:127]
	v_fma_f64 v[18:19], v[4:5], v[84:85], v[130:131]
	v_fma_f64 v[32:33], v[32:33], v[96:97], v[34:35]
	;; [unrolled: 1-line block ×5, first 2 shown]
	v_fma_f64 v[12:13], v[12:13], v[110:111], -v[143:144]
	v_fma_f64 v[28:29], v[20:21], v[104:105], v[133:134]
	v_fma_f64 v[20:21], v[20:21], v[106:107], -v[135:136]
	s_waitcnt lgkmcnt(0)
	s_barrier
	buffer_gl0_inv
	v_mul_f64 v[145:146], v[10:11], v[38:39]
	v_mul_f64 v[147:148], v[10:11], v[36:37]
	v_fma_f64 v[10:11], v[24:25], v[102:103], -v[128:129]
	v_fma_f64 v[24:25], v[16:17], v[112:113], v[137:138]
	v_fma_f64 v[16:17], v[16:17], v[114:115], -v[139:140]
	v_add_f64 v[42:43], v[0:1], v[116:117]
	v_add_f64 v[88:89], v[2:3], v[124:125]
	v_add_f64 v[34:35], v[124:125], -v[14:15]
	v_add_f64 v[84:85], v[86:87], v[6:7]
	v_add_f64 v[94:95], v[116:117], v[18:19]
	v_add_f64 v[96:97], v[116:117], -v[18:19]
	;; [unrolled: 3-line block ×3, first 2 shown]
	v_fma_f64 v[30:31], v[8:9], v[36:37], v[145:146]
	v_fma_f64 v[8:9], v[8:9], v[38:39], -v[147:148]
	v_add_f64 v[38:39], v[86:87], -v[6:7]
	v_add_f64 v[36:37], v[124:125], v[14:15]
	v_add_f64 v[104:105], v[28:29], v[24:25]
	;; [unrolled: 1-line block ×3, first 2 shown]
	v_add_f64 v[108:109], v[20:21], -v[16:17]
	v_add_f64 v[110:111], v[28:29], -v[24:25]
	v_add_f64 v[92:93], v[90:91], v[10:11]
	v_add_f64 v[42:43], v[42:43], v[40:41]
	;; [unrolled: 1-line block ×3, first 2 shown]
	v_mul_f64 v[120:121], v[34:35], s[2:3]
	v_mul_f64 v[124:125], v[34:35], s[16:17]
	;; [unrolled: 1-line block ×5, first 2 shown]
	v_add_f64 v[88:89], v[90:91], -v[10:11]
	v_add_f64 v[40:41], v[40:41], -v[4:5]
	v_mul_f64 v[139:140], v[84:85], s[18:19]
	v_mul_f64 v[143:144], v[84:85], s[38:39]
	;; [unrolled: 1-line block ×3, first 2 shown]
	v_add_f64 v[112:113], v[26:27], v[30:31]
	v_add_f64 v[114:115], v[12:13], v[8:9]
	v_mul_f64 v[137:138], v[38:39], s[16:17]
	v_mul_f64 v[122:123], v[36:37], s[8:9]
	;; [unrolled: 1-line block ×8, first 2 shown]
	v_add_f64 v[116:117], v[26:27], -v[30:31]
	v_add_f64 v[118:119], v[12:13], -v[8:9]
	v_mul_f64 v[151:152], v[92:93], s[24:25]
	v_mul_f64 v[155:156], v[92:93], s[38:39]
	;; [unrolled: 1-line block ×4, first 2 shown]
	v_add_f64 v[32:33], v[42:43], v[32:33]
	v_add_f64 v[42:43], v[86:87], v[90:91]
	v_mul_f64 v[86:87], v[84:85], s[30:31]
	v_fma_f64 v[197:198], v[94:95], s[18:19], v[124:125]
	v_mul_f64 v[90:91], v[38:39], s[40:41]
	v_fma_f64 v[124:125], v[94:95], s[18:19], -v[124:125]
	v_fma_f64 v[201:202], v[94:95], s[24:25], v[128:129]
	v_fma_f64 v[128:129], v[94:95], s[24:25], -v[128:129]
	v_fma_f64 v[209:210], v[94:95], s[30:31], v[133:134]
	v_mul_f64 v[38:39], v[38:39], s[10:11]
	v_mul_f64 v[84:85], v[84:85], s[8:9]
	v_fma_f64 v[133:134], v[94:95], s[30:31], -v[133:134]
	v_fma_f64 v[213:214], v[94:95], s[38:39], v[34:35]
	v_fma_f64 v[34:35], v[94:95], s[38:39], -v[34:35]
	v_mul_f64 v[149:150], v[88:89], s[22:23]
	v_mul_f64 v[153:154], v[88:89], s[40:41]
	v_mul_f64 v[157:158], v[88:89], s[20:21]
	v_fma_f64 v[223:224], v[40:41], s[36:37], v[143:144]
	v_mul_f64 v[161:162], v[88:89], s[2:3]
	v_fma_f64 v[227:228], v[40:41], s[22:23], v[147:148]
	v_mul_f64 v[88:89], v[88:89], s[28:29]
	v_mul_f64 v[92:93], v[92:93], s[30:31]
	v_fma_f64 v[143:144], v[40:41], s[40:41], v[143:144]
	v_mul_f64 v[183:184], v[114:115], s[38:39]
	v_mul_f64 v[187:188], v[114:115], s[8:9]
	;; [unrolled: 1-line block ×4, first 2 shown]
	v_fma_f64 v[199:200], v[96:97], s[20:21], v[126:127]
	v_fma_f64 v[203:204], v[96:97], s[26:27], v[130:131]
	;; [unrolled: 1-line block ×9, first 2 shown]
	v_fma_f64 v[141:142], v[98:99], s[30:31], -v[141:142]
	v_fma_f64 v[225:226], v[98:99], s[24:25], v[145:146]
	v_add_f64 v[28:29], v[32:33], v[28:29]
	v_add_f64 v[20:21], v[42:43], v[20:21]
	v_mul_f64 v[32:33], v[114:115], s[24:25]
	v_fma_f64 v[42:43], v[94:95], s[8:9], v[120:121]
	v_fma_f64 v[114:115], v[96:97], s[10:11], v[122:123]
	v_fma_f64 v[120:121], v[94:95], s[8:9], -v[120:121]
	v_fma_f64 v[122:123], v[96:97], s[2:3], v[122:123]
	v_fma_f64 v[94:95], v[98:99], s[18:19], v[137:138]
	;; [unrolled: 1-line block ×3, first 2 shown]
	v_fma_f64 v[137:138], v[98:99], s[18:19], -v[137:138]
	v_fma_f64 v[139:140], v[40:41], s[16:17], v[139:140]
	v_fma_f64 v[219:220], v[40:41], s[34:35], v[86:87]
	v_add_f64 v[197:198], v[0:1], v[197:198]
	v_fma_f64 v[221:222], v[98:99], s[38:39], v[90:91]
	v_add_f64 v[124:125], v[0:1], v[124:125]
	v_add_f64 v[201:202], v[0:1], v[201:202]
	v_fma_f64 v[90:91], v[98:99], s[38:39], -v[90:91]
	v_add_f64 v[128:129], v[0:1], v[128:129]
	v_add_f64 v[209:210], v[0:1], v[209:210]
	v_fma_f64 v[145:146], v[98:99], s[24:25], -v[145:146]
	v_add_f64 v[133:134], v[0:1], v[133:134]
	v_add_f64 v[213:214], v[0:1], v[213:214]
	v_fma_f64 v[86:87], v[40:41], s[28:29], v[86:87]
	v_mul_f64 v[165:166], v[108:109], s[28:29]
	v_mul_f64 v[167:168], v[106:107], s[30:31]
	;; [unrolled: 1-line block ×4, first 2 shown]
	v_add_f64 v[199:200], v[2:3], v[199:200]
	v_add_f64 v[203:204], v[2:3], v[203:204]
	;; [unrolled: 1-line block ×4, first 2 shown]
	v_fma_f64 v[229:230], v[100:101], s[38:39], v[153:154]
	v_fma_f64 v[231:232], v[102:103], s[36:37], v[155:156]
	v_add_f64 v[130:131], v[2:3], v[130:131]
	v_add_f64 v[126:127], v[2:3], v[126:127]
	v_mul_f64 v[173:174], v[108:109], s[2:3]
	v_mul_f64 v[175:176], v[106:107], s[8:9]
	v_fma_f64 v[233:234], v[100:101], s[18:19], v[157:158]
	v_add_f64 v[26:27], v[28:29], v[26:27]
	v_add_f64 v[12:13], v[20:21], v[12:13]
	v_fma_f64 v[20:21], v[40:41], s[26:27], v[147:148]
	v_add_f64 v[42:43], v[0:1], v[42:43]
	v_fma_f64 v[28:29], v[98:99], s[8:9], v[38:39]
	v_add_f64 v[120:121], v[0:1], v[120:121]
	v_add_f64 v[122:123], v[2:3], v[122:123]
	v_fma_f64 v[147:148], v[40:41], s[2:3], v[84:85]
	v_fma_f64 v[38:39], v[98:99], s[8:9], -v[38:39]
	v_fma_f64 v[40:41], v[40:41], s[10:11], v[84:85]
	v_add_f64 v[0:1], v[0:1], v[34:35]
	v_add_f64 v[34:35], v[2:3], v[36:37]
	;; [unrolled: 1-line block ×4, first 2 shown]
	v_fma_f64 v[84:85], v[100:101], s[24:25], v[149:150]
	v_fma_f64 v[98:99], v[102:103], s[26:27], v[151:152]
	v_fma_f64 v[149:150], v[100:101], s[24:25], -v[149:150]
	v_fma_f64 v[151:152], v[102:103], s[22:23], v[151:152]
	v_fma_f64 v[235:236], v[102:103], s[16:17], v[159:160]
	v_add_f64 v[124:125], v[141:142], v[124:125]
	v_mul_f64 v[177:178], v[108:109], s[36:37]
	v_mul_f64 v[179:180], v[106:107], s[38:39]
	v_fma_f64 v[157:158], v[100:101], s[18:19], -v[157:158]
	v_add_f64 v[90:91], v[90:91], v[128:129]
	v_add_f64 v[128:129], v[225:226], v[209:210]
	v_mul_f64 v[108:109], v[108:109], s[20:21]
	v_mul_f64 v[106:107], v[106:107], s[18:19]
	v_fma_f64 v[114:115], v[100:101], s[8:9], -v[161:162]
	v_add_f64 v[141:142], v[223:224], v[203:204]
	v_fma_f64 v[135:136], v[102:103], s[2:3], v[163:164]
	v_add_f64 v[133:134], v[145:146], v[133:134]
	v_fma_f64 v[159:160], v[102:103], s[20:21], v[159:160]
	v_fma_f64 v[153:154], v[100:101], s[38:39], -v[153:154]
	v_fma_f64 v[155:156], v[102:103], s[40:41], v[155:156]
	v_mul_f64 v[185:186], v[118:119], s[10:11]
	v_fma_f64 v[237:238], v[104:105], s[24:25], v[169:170]
	v_fma_f64 v[239:240], v[110:111], s[22:23], v[171:172]
	v_mul_f64 v[189:190], v[118:119], s[28:29]
	v_add_f64 v[26:27], v[26:27], v[30:31]
	v_add_f64 v[8:9], v[12:13], v[8:9]
	v_fma_f64 v[12:13], v[100:101], s[8:9], v[161:162]
	v_add_f64 v[42:43], v[94:95], v[42:43]
	v_fma_f64 v[30:31], v[102:103], s[10:11], v[163:164]
	v_add_f64 v[94:95], v[137:138], v[120:121]
	v_add_f64 v[120:121], v[139:140], v[122:123]
	;; [unrolled: 1-line block ×6, first 2 shown]
	v_fma_f64 v[161:162], v[100:101], s[30:31], v[88:89]
	v_fma_f64 v[163:164], v[102:103], s[34:35], v[92:93]
	v_add_f64 v[28:29], v[28:29], v[213:214]
	v_add_f64 v[145:146], v[147:148], v[215:216]
	v_fma_f64 v[88:89], v[100:101], s[30:31], -v[88:89]
	v_fma_f64 v[92:93], v[102:103], s[28:29], v[92:93]
	v_add_f64 v[0:1], v[38:39], v[0:1]
	v_add_f64 v[34:35], v[40:41], v[34:35]
	;; [unrolled: 1-line block ×6, first 2 shown]
	v_fma_f64 v[100:101], v[104:105], s[30:31], v[165:166]
	v_fma_f64 v[102:103], v[110:111], s[34:35], v[167:168]
	v_fma_f64 v[165:166], v[104:105], s[30:31], -v[165:166]
	v_fma_f64 v[167:168], v[110:111], s[28:29], v[167:168]
	v_mul_f64 v[193:194], v[118:119], s[20:21]
	v_fma_f64 v[40:41], v[104:105], s[8:9], -v[173:174]
	v_fma_f64 v[96:97], v[104:105], s[38:39], v[177:178]
	v_fma_f64 v[126:127], v[110:111], s[40:41], v[179:180]
	v_add_f64 v[90:91], v[157:158], v[90:91]
	v_mul_f64 v[181:182], v[118:119], s[36:37]
	v_mul_f64 v[118:119], v[118:119], s[22:23]
	v_fma_f64 v[130:131], v[104:105], s[38:39], -v[177:178]
	v_fma_f64 v[147:148], v[104:105], s[18:19], v[108:109]
	v_add_f64 v[114:115], v[114:115], v[133:134]
	v_fma_f64 v[169:170], v[104:105], s[24:25], -v[169:170]
	v_add_f64 v[24:25], v[26:27], v[24:25]
	v_add_f64 v[8:9], v[8:9], v[16:17]
	v_fma_f64 v[16:17], v[104:105], s[8:9], v[173:174]
	v_add_f64 v[42:43], v[84:85], v[42:43]
	v_fma_f64 v[26:27], v[110:111], s[10:11], v[175:176]
	v_add_f64 v[84:85], v[149:150], v[94:95]
	v_add_f64 v[94:95], v[151:152], v[120:121]
	;; [unrolled: 1-line block ×8, first 2 shown]
	v_fma_f64 v[173:174], v[110:111], s[16:17], v[106:107]
	v_add_f64 v[28:29], v[161:162], v[28:29]
	v_add_f64 v[128:129], v[163:164], v[145:146]
	v_fma_f64 v[104:105], v[104:105], s[18:19], -v[108:109]
	v_fma_f64 v[106:107], v[110:111], s[20:21], v[106:107]
	v_add_f64 v[0:1], v[88:89], v[0:1]
	v_add_f64 v[34:35], v[92:93], v[34:35]
	v_fma_f64 v[143:144], v[110:111], s[36:37], v[179:180]
	v_add_f64 v[20:21], v[135:136], v[20:21]
	v_fma_f64 v[86:87], v[110:111], s[2:3], v[175:176]
	v_add_f64 v[36:37], v[159:160], v[36:37]
	v_fma_f64 v[171:172], v[110:111], s[26:27], v[171:172]
	v_add_f64 v[124:125], v[153:154], v[124:125]
	v_add_f64 v[38:39], v[155:156], v[38:39]
	;; [unrolled: 1-line block ×3, first 2 shown]
	v_fma_f64 v[110:111], v[116:117], s[40:41], v[183:184]
	v_fma_f64 v[177:178], v[116:117], s[36:37], v[183:184]
	;; [unrolled: 1-line block ×10, first 2 shown]
	v_add_f64 v[22:23], v[24:25], v[22:23]
	v_add_f64 v[8:9], v[8:9], v[10:11]
	v_fma_f64 v[24:25], v[112:113], s[8:9], v[185:186]
	v_add_f64 v[10:11], v[100:101], v[42:43]
	v_fma_f64 v[133:134], v[112:113], s[30:31], v[189:190]
	v_add_f64 v[32:33], v[165:166], v[84:85]
	v_add_f64 v[42:43], v[167:168], v[94:95]
	;; [unrolled: 1-line block ×6, first 2 shown]
	v_fma_f64 v[149:150], v[112:113], s[18:19], v[193:194]
	v_add_f64 v[40:41], v[40:41], v[90:91]
	v_add_f64 v[90:91], v[96:97], v[12:13]
	;; [unrolled: 1-line block ×3, first 2 shown]
	v_fma_f64 v[108:109], v[112:113], s[38:39], v[181:182]
	v_fma_f64 v[175:176], v[112:113], s[38:39], -v[181:182]
	v_fma_f64 v[92:93], v[112:113], s[8:9], -v[185:186]
	v_fma_f64 v[141:142], v[112:113], s[30:31], -v[189:190]
	v_fma_f64 v[153:154], v[112:113], s[18:19], -v[193:194]
	v_fma_f64 v[157:158], v[112:113], s[24:25], v[118:119]
	v_fma_f64 v[112:113], v[112:113], s[24:25], -v[118:119]
	v_add_f64 v[96:97], v[130:131], v[114:115]
	v_add_f64 v[114:115], v[147:148], v[28:29]
	;; [unrolled: 1-line block ×34, first 2 shown]
	ds_store_b128 v208, v[20:23] offset:416
	ds_store_b128 v208, v[24:27] offset:624
	;; [unrolled: 1-line block ×9, first 2 shown]
	ds_store_b128 v208, v[16:19]
	ds_store_b128 v208, v[12:15] offset:208
	s_waitcnt lgkmcnt(0)
	s_barrier
	buffer_gl0_inv
	ds_load_b128 v[12:15], v205
	ds_load_b128 v[16:19], v205 offset:832
	ds_load_b128 v[32:35], v205 offset:2288
	;; [unrolled: 1-line block ×7, first 2 shown]
	s_and_saveexec_b32 s1, s0
	s_cbranch_execz .LBB0_19
; %bb.18:
	ds_load_b128 v[0:3], v205 offset:1664
	ds_load_b128 v[4:7], v205 offset:3952
	;; [unrolled: 1-line block ×4, first 2 shown]
.LBB0_19:
	s_or_b32 exec_lo, exec_lo, s1
	s_waitcnt lgkmcnt(5)
	v_mul_f64 v[84:85], v[66:67], v[34:35]
	v_mul_f64 v[66:67], v[66:67], v[32:33]
	s_waitcnt lgkmcnt(3)
	v_mul_f64 v[86:87], v[62:63], v[38:39]
	v_mul_f64 v[62:63], v[62:63], v[36:37]
	;; [unrolled: 3-line block ×3, first 2 shown]
	v_mul_f64 v[90:91], v[70:71], v[22:23]
	v_mul_f64 v[70:71], v[70:71], v[20:21]
	;; [unrolled: 1-line block ×4, first 2 shown]
	s_waitcnt lgkmcnt(0)
	v_mul_f64 v[94:95], v[74:75], v[30:31]
	v_mul_f64 v[74:75], v[74:75], v[28:29]
	v_fma_f64 v[32:33], v[64:65], v[32:33], v[84:85]
	v_fma_f64 v[34:35], v[64:65], v[34:35], -v[66:67]
	v_fma_f64 v[36:37], v[60:61], v[36:37], v[86:87]
	v_fma_f64 v[38:39], v[60:61], v[38:39], -v[62:63]
	;; [unrolled: 2-line block ×6, first 2 shown]
	v_add_f64 v[36:37], v[12:13], -v[36:37]
	v_add_f64 v[38:39], v[14:15], -v[38:39]
	v_add_f64 v[40:41], v[32:33], -v[40:41]
	v_add_f64 v[42:43], v[34:35], -v[42:43]
	v_add_f64 v[56:57], v[16:17], -v[24:25]
	v_add_f64 v[58:59], v[18:19], -v[26:27]
	v_add_f64 v[24:25], v[20:21], -v[28:29]
	v_add_f64 v[26:27], v[22:23], -v[30:31]
	v_fma_f64 v[60:61], v[12:13], 2.0, -v[36:37]
	v_fma_f64 v[62:63], v[14:15], 2.0, -v[38:39]
	;; [unrolled: 1-line block ×4, first 2 shown]
	v_add_f64 v[12:13], v[36:37], v[42:43]
	v_add_f64 v[14:15], v[38:39], -v[40:41]
	v_fma_f64 v[64:65], v[16:17], 2.0, -v[56:57]
	v_fma_f64 v[66:67], v[18:19], 2.0, -v[58:59]
	;; [unrolled: 1-line block ×4, first 2 shown]
	v_add_f64 v[16:17], v[56:57], v[26:27]
	v_add_f64 v[18:19], v[58:59], -v[24:25]
	v_add_f64 v[20:21], v[60:61], -v[28:29]
	;; [unrolled: 1-line block ×3, first 2 shown]
	v_fma_f64 v[28:29], v[36:37], 2.0, -v[12:13]
	v_fma_f64 v[30:31], v[38:39], 2.0, -v[14:15]
	v_add_f64 v[24:25], v[64:65], -v[32:33]
	v_add_f64 v[26:27], v[66:67], -v[34:35]
	v_fma_f64 v[32:33], v[56:57], 2.0, -v[16:17]
	v_fma_f64 v[34:35], v[58:59], 2.0, -v[18:19]
	;; [unrolled: 1-line block ×6, first 2 shown]
	ds_store_b128 v205, v[28:31] offset:2288
	ds_store_b128 v205, v[32:35] offset:3120
	ds_store_b128 v205, v[20:23] offset:4576
	ds_store_b128 v205, v[24:27] offset:5408
	ds_store_b128 v205, v[36:39]
	ds_store_b128 v205, v[40:43] offset:832
	ds_store_b128 v205, v[12:15] offset:6864
	;; [unrolled: 1-line block ×3, first 2 shown]
	s_and_saveexec_b32 s1, s0
	s_cbranch_execz .LBB0_21
; %bb.20:
	v_mul_f64 v[12:13], v[50:51], v[8:9]
	v_mul_f64 v[14:15], v[54:55], v[6:7]
	;; [unrolled: 1-line block ×6, first 2 shown]
	v_fma_f64 v[10:11], v[48:49], v[10:11], -v[12:13]
	v_fma_f64 v[4:5], v[52:53], v[4:5], v[14:15]
	v_fma_f64 v[6:7], v[52:53], v[6:7], -v[16:17]
	v_fma_f64 v[12:13], v[44:45], v[82:83], -v[18:19]
	v_fma_f64 v[8:9], v[48:49], v[8:9], v[20:21]
	v_fma_f64 v[14:15], v[44:45], v[80:81], v[22:23]
	v_add_f64 v[10:11], v[2:3], -v[10:11]
	s_delay_alu instid0(VALU_DEP_4) | instskip(NEXT) | instid1(VALU_DEP_4)
	v_add_f64 v[12:13], v[6:7], -v[12:13]
	v_add_f64 v[8:9], v[0:1], -v[8:9]
	s_delay_alu instid0(VALU_DEP_4) | instskip(NEXT) | instid1(VALU_DEP_4)
	v_add_f64 v[14:15], v[4:5], -v[14:15]
	v_fma_f64 v[16:17], v[2:3], 2.0, -v[10:11]
	s_delay_alu instid0(VALU_DEP_4) | instskip(NEXT) | instid1(VALU_DEP_4)
	v_fma_f64 v[6:7], v[6:7], 2.0, -v[12:13]
	v_fma_f64 v[18:19], v[0:1], 2.0, -v[8:9]
	s_delay_alu instid0(VALU_DEP_4) | instskip(SKIP_1) | instid1(VALU_DEP_4)
	v_fma_f64 v[0:1], v[4:5], 2.0, -v[14:15]
	v_add_f64 v[2:3], v[10:11], -v[14:15]
	v_add_f64 v[6:7], v[16:17], -v[6:7]
	s_delay_alu instid0(VALU_DEP_3) | instskip(SKIP_1) | instid1(VALU_DEP_4)
	v_add_f64 v[4:5], v[18:19], -v[0:1]
	v_add_f64 v[0:1], v[8:9], v[12:13]
	v_fma_f64 v[10:11], v[10:11], 2.0, -v[2:3]
	s_delay_alu instid0(VALU_DEP_4) | instskip(NEXT) | instid1(VALU_DEP_4)
	v_fma_f64 v[14:15], v[16:17], 2.0, -v[6:7]
	v_fma_f64 v[12:13], v[18:19], 2.0, -v[4:5]
	s_delay_alu instid0(VALU_DEP_4)
	v_fma_f64 v[8:9], v[8:9], 2.0, -v[0:1]
	ds_store_b128 v205, v[12:15] offset:1664
	ds_store_b128 v205, v[8:11] offset:3952
	ds_store_b128 v205, v[4:7] offset:6240
	ds_store_b128 v205, v[0:3] offset:8528
.LBB0_21:
	s_or_b32 exec_lo, exec_lo, s1
	s_waitcnt lgkmcnt(0)
	s_barrier
	buffer_gl0_inv
	s_and_b32 exec_lo, exec_lo, vcc_lo
	s_cbranch_execz .LBB0_23
; %bb.22:
	v_add_co_u32 v0, s0, s14, v205
	s_delay_alu instid0(VALU_DEP_1)
	v_add_co_ci_u32_e64 v1, null, s15, 0, s0
	s_clause 0x3
	global_load_b128 v[2:5], v205, s[14:15]
	global_load_b128 v[6:9], v205, s[14:15] offset:704
	global_load_b128 v[10:13], v205, s[14:15] offset:1408
	global_load_b128 v[14:17], v205, s[14:15] offset:2112
	v_add_co_u32 v46, vcc_lo, 0x1000, v0
	v_add_co_ci_u32_e32 v47, vcc_lo, 0, v1, vcc_lo
	v_mad_u64_u32 v[90:91], null, s6, v132, 0
	s_clause 0x7
	global_load_b128 v[18:21], v205, s[14:15] offset:2816
	global_load_b128 v[22:25], v205, s[14:15] offset:3520
	global_load_b128 v[26:29], v[46:47], off offset:128
	global_load_b128 v[30:33], v[46:47], off offset:832
	global_load_b128 v[34:37], v[46:47], off offset:1536
	global_load_b128 v[38:41], v[46:47], off offset:2240
	global_load_b128 v[42:45], v[46:47], off offset:2944
	global_load_b128 v[46:49], v[46:47], off offset:3648
	v_mad_u64_u32 v[102:103], null, s4, v206, 0
	ds_load_b128 v[50:53], v205
	ds_load_b128 v[54:57], v205 offset:704
	s_mul_i32 s0, s5, 0x2c0
	s_mul_hi_u32 s1, s4, 0x2c0
	v_mov_b32_e32 v58, v91
	s_mul_i32 s2, s4, 0x2c0
	s_add_i32 s3, s1, s0
	v_mov_b32_e32 v66, v103
	s_mov_b32 s0, 0x55ee191
	v_mad_u64_u32 v[74:75], null, s7, v132, v[58:59]
	ds_load_b128 v[58:61], v205 offset:1408
	ds_load_b128 v[62:65], v205 offset:2112
	v_mad_u64_u32 v[92:93], null, s5, v206, v[66:67]
	ds_load_b128 v[66:69], v205 offset:2816
	ds_load_b128 v[70:73], v205 offset:3520
	s_mov_b32 s1, 0x3f5ca4b3
	v_mov_b32_e32 v91, v74
	ds_load_b128 v[74:77], v205 offset:4224
	ds_load_b128 v[78:81], v205 offset:4928
	;; [unrolled: 1-line block ×4, first 2 shown]
	v_mov_b32_e32 v103, v92
	v_lshlrev_b64 v[104:105], 4, v[90:91]
	ds_load_b128 v[90:93], v205 offset:7040
	ds_load_b128 v[94:97], v205 offset:7744
	;; [unrolled: 1-line block ×3, first 2 shown]
	v_lshlrev_b64 v[102:103], 4, v[102:103]
	v_add_co_u32 v104, vcc_lo, s12, v104
	v_add_co_ci_u32_e32 v105, vcc_lo, s13, v105, vcc_lo
	s_delay_alu instid0(VALU_DEP_2) | instskip(NEXT) | instid1(VALU_DEP_2)
	v_add_co_u32 v102, vcc_lo, v104, v102
	v_add_co_ci_u32_e32 v103, vcc_lo, v105, v103, vcc_lo
	s_delay_alu instid0(VALU_DEP_2) | instskip(NEXT) | instid1(VALU_DEP_2)
	v_add_co_u32 v128, vcc_lo, v102, s2
	v_add_co_ci_u32_e32 v129, vcc_lo, s3, v103, vcc_lo
	s_delay_alu instid0(VALU_DEP_2) | instskip(NEXT) | instid1(VALU_DEP_2)
	v_add_co_u32 v130, vcc_lo, v128, s2
	v_add_co_ci_u32_e32 v131, vcc_lo, s3, v129, vcc_lo
	s_delay_alu instid0(VALU_DEP_2) | instskip(NEXT) | instid1(VALU_DEP_2)
	v_add_co_u32 v132, vcc_lo, v130, s2
	v_add_co_ci_u32_e32 v133, vcc_lo, s3, v131, vcc_lo
	s_waitcnt vmcnt(11) lgkmcnt(12)
	v_mul_f64 v[104:105], v[52:53], v[4:5]
	v_mul_f64 v[4:5], v[50:51], v[4:5]
	s_waitcnt vmcnt(10) lgkmcnt(11)
	v_mul_f64 v[106:107], v[56:57], v[8:9]
	v_mul_f64 v[8:9], v[54:55], v[8:9]
	;; [unrolled: 3-line block ×12, first 2 shown]
	v_fma_f64 v[50:51], v[50:51], v[2:3], v[104:105]
	v_fma_f64 v[4:5], v[2:3], v[52:53], -v[4:5]
	v_fma_f64 v[52:53], v[54:55], v[6:7], v[106:107]
	v_fma_f64 v[8:9], v[6:7], v[56:57], -v[8:9]
	;; [unrolled: 2-line block ×12, first 2 shown]
	v_add_co_u32 v74, vcc_lo, v132, s2
	v_add_co_ci_u32_e32 v75, vcc_lo, s3, v133, vcc_lo
	s_delay_alu instid0(VALU_DEP_2) | instskip(NEXT) | instid1(VALU_DEP_2)
	v_add_co_u32 v76, vcc_lo, v74, s2
	v_add_co_ci_u32_e32 v77, vcc_lo, s3, v75, vcc_lo
	s_delay_alu instid0(VALU_DEP_2) | instskip(NEXT) | instid1(VALU_DEP_2)
	v_add_co_u32 v78, vcc_lo, v76, s2
	v_add_co_ci_u32_e32 v79, vcc_lo, s3, v77, vcc_lo
	v_mul_f64 v[2:3], v[50:51], s[0:1]
	v_mul_f64 v[4:5], v[4:5], s[0:1]
	;; [unrolled: 1-line block ×24, first 2 shown]
	v_add_co_u32 v50, vcc_lo, v78, s2
	v_add_co_ci_u32_e32 v51, vcc_lo, s3, v79, vcc_lo
	s_delay_alu instid0(VALU_DEP_2) | instskip(NEXT) | instid1(VALU_DEP_2)
	v_add_co_u32 v52, vcc_lo, v50, s2
	v_add_co_ci_u32_e32 v53, vcc_lo, s3, v51, vcc_lo
	s_delay_alu instid0(VALU_DEP_2) | instskip(NEXT) | instid1(VALU_DEP_2)
	;; [unrolled: 3-line block ×3, first 2 shown]
	v_add_co_u32 v56, vcc_lo, v54, s2
	v_add_co_ci_u32_e32 v57, vcc_lo, s3, v55, vcc_lo
	v_add_co_u32 v0, vcc_lo, 0x2000, v0
	v_add_co_ci_u32_e32 v1, vcc_lo, 0, v1, vcc_lo
	s_delay_alu instid0(VALU_DEP_4) | instskip(NEXT) | instid1(VALU_DEP_4)
	v_add_co_u32 v58, vcc_lo, v56, s2
	v_add_co_ci_u32_e32 v59, vcc_lo, s3, v57, vcc_lo
	s_clause 0x4
	global_store_b128 v[102:103], v[2:5], off
	global_store_b128 v[128:129], v[6:9], off
	;; [unrolled: 1-line block ×12, first 2 shown]
	global_load_b128 v[0:3], v[0:1], off offset:256
	s_waitcnt vmcnt(0) lgkmcnt(0)
	v_mul_f64 v[4:5], v[100:101], v[2:3]
	v_mul_f64 v[2:3], v[98:99], v[2:3]
	s_delay_alu instid0(VALU_DEP_2) | instskip(NEXT) | instid1(VALU_DEP_2)
	v_fma_f64 v[4:5], v[98:99], v[0:1], v[4:5]
	v_fma_f64 v[2:3], v[0:1], v[100:101], -v[2:3]
	s_delay_alu instid0(VALU_DEP_2) | instskip(NEXT) | instid1(VALU_DEP_2)
	v_mul_f64 v[0:1], v[4:5], s[0:1]
	v_mul_f64 v[2:3], v[2:3], s[0:1]
	v_add_co_u32 v4, vcc_lo, v58, s2
	v_add_co_ci_u32_e32 v5, vcc_lo, s3, v59, vcc_lo
	global_store_b128 v[4:5], v[0:3], off
.LBB0_23:
	s_nop 0
	s_sendmsg sendmsg(MSG_DEALLOC_VGPRS)
	s_endpgm
	.section	.rodata,"a",@progbits
	.p2align	6, 0x0
	.amdhsa_kernel bluestein_single_back_len572_dim1_dp_op_CI_CI
		.amdhsa_group_segment_fixed_size 9152
		.amdhsa_private_segment_fixed_size 0
		.amdhsa_kernarg_size 104
		.amdhsa_user_sgpr_count 15
		.amdhsa_user_sgpr_dispatch_ptr 0
		.amdhsa_user_sgpr_queue_ptr 0
		.amdhsa_user_sgpr_kernarg_segment_ptr 1
		.amdhsa_user_sgpr_dispatch_id 0
		.amdhsa_user_sgpr_private_segment_size 0
		.amdhsa_wavefront_size32 1
		.amdhsa_uses_dynamic_stack 0
		.amdhsa_enable_private_segment 0
		.amdhsa_system_sgpr_workgroup_id_x 1
		.amdhsa_system_sgpr_workgroup_id_y 0
		.amdhsa_system_sgpr_workgroup_id_z 0
		.amdhsa_system_sgpr_workgroup_info 0
		.amdhsa_system_vgpr_workitem_id 0
		.amdhsa_next_free_vgpr 254
		.amdhsa_next_free_sgpr 46
		.amdhsa_reserve_vcc 1
		.amdhsa_float_round_mode_32 0
		.amdhsa_float_round_mode_16_64 0
		.amdhsa_float_denorm_mode_32 3
		.amdhsa_float_denorm_mode_16_64 3
		.amdhsa_dx10_clamp 1
		.amdhsa_ieee_mode 1
		.amdhsa_fp16_overflow 0
		.amdhsa_workgroup_processor_mode 1
		.amdhsa_memory_ordered 1
		.amdhsa_forward_progress 0
		.amdhsa_shared_vgpr_count 0
		.amdhsa_exception_fp_ieee_invalid_op 0
		.amdhsa_exception_fp_denorm_src 0
		.amdhsa_exception_fp_ieee_div_zero 0
		.amdhsa_exception_fp_ieee_overflow 0
		.amdhsa_exception_fp_ieee_underflow 0
		.amdhsa_exception_fp_ieee_inexact 0
		.amdhsa_exception_int_div_zero 0
	.end_amdhsa_kernel
	.text
.Lfunc_end0:
	.size	bluestein_single_back_len572_dim1_dp_op_CI_CI, .Lfunc_end0-bluestein_single_back_len572_dim1_dp_op_CI_CI
                                        ; -- End function
	.section	.AMDGPU.csdata,"",@progbits
; Kernel info:
; codeLenInByte = 20348
; NumSgprs: 48
; NumVgprs: 254
; ScratchSize: 0
; MemoryBound: 0
; FloatMode: 240
; IeeeMode: 1
; LDSByteSize: 9152 bytes/workgroup (compile time only)
; SGPRBlocks: 5
; VGPRBlocks: 31
; NumSGPRsForWavesPerEU: 48
; NumVGPRsForWavesPerEU: 254
; Occupancy: 5
; WaveLimiterHint : 1
; COMPUTE_PGM_RSRC2:SCRATCH_EN: 0
; COMPUTE_PGM_RSRC2:USER_SGPR: 15
; COMPUTE_PGM_RSRC2:TRAP_HANDLER: 0
; COMPUTE_PGM_RSRC2:TGID_X_EN: 1
; COMPUTE_PGM_RSRC2:TGID_Y_EN: 0
; COMPUTE_PGM_RSRC2:TGID_Z_EN: 0
; COMPUTE_PGM_RSRC2:TIDIG_COMP_CNT: 0
	.text
	.p2alignl 7, 3214868480
	.fill 96, 4, 3214868480
	.type	__hip_cuid_eb1fd23e6b4578e7,@object ; @__hip_cuid_eb1fd23e6b4578e7
	.section	.bss,"aw",@nobits
	.globl	__hip_cuid_eb1fd23e6b4578e7
__hip_cuid_eb1fd23e6b4578e7:
	.byte	0                               ; 0x0
	.size	__hip_cuid_eb1fd23e6b4578e7, 1

	.ident	"AMD clang version 19.0.0git (https://github.com/RadeonOpenCompute/llvm-project roc-6.4.0 25133 c7fe45cf4b819c5991fe208aaa96edf142730f1d)"
	.section	".note.GNU-stack","",@progbits
	.addrsig
	.addrsig_sym __hip_cuid_eb1fd23e6b4578e7
	.amdgpu_metadata
---
amdhsa.kernels:
  - .args:
      - .actual_access:  read_only
        .address_space:  global
        .offset:         0
        .size:           8
        .value_kind:     global_buffer
      - .actual_access:  read_only
        .address_space:  global
        .offset:         8
        .size:           8
        .value_kind:     global_buffer
      - .actual_access:  read_only
        .address_space:  global
        .offset:         16
        .size:           8
        .value_kind:     global_buffer
      - .actual_access:  read_only
        .address_space:  global
        .offset:         24
        .size:           8
        .value_kind:     global_buffer
      - .actual_access:  read_only
        .address_space:  global
        .offset:         32
        .size:           8
        .value_kind:     global_buffer
      - .offset:         40
        .size:           8
        .value_kind:     by_value
      - .address_space:  global
        .offset:         48
        .size:           8
        .value_kind:     global_buffer
      - .address_space:  global
        .offset:         56
        .size:           8
        .value_kind:     global_buffer
      - .address_space:  global
        .offset:         64
        .size:           8
        .value_kind:     global_buffer
      - .address_space:  global
        .offset:         72
        .size:           8
        .value_kind:     global_buffer
      - .offset:         80
        .size:           4
        .value_kind:     by_value
      - .address_space:  global
        .offset:         88
        .size:           8
        .value_kind:     global_buffer
      - .address_space:  global
        .offset:         96
        .size:           8
        .value_kind:     global_buffer
    .group_segment_fixed_size: 9152
    .kernarg_segment_align: 8
    .kernarg_segment_size: 104
    .language:       OpenCL C
    .language_version:
      - 2
      - 0
    .max_flat_workgroup_size: 52
    .name:           bluestein_single_back_len572_dim1_dp_op_CI_CI
    .private_segment_fixed_size: 0
    .sgpr_count:     48
    .sgpr_spill_count: 0
    .symbol:         bluestein_single_back_len572_dim1_dp_op_CI_CI.kd
    .uniform_work_group_size: 1
    .uses_dynamic_stack: false
    .vgpr_count:     254
    .vgpr_spill_count: 0
    .wavefront_size: 32
    .workgroup_processor_mode: 1
amdhsa.target:   amdgcn-amd-amdhsa--gfx1100
amdhsa.version:
  - 1
  - 2
...

	.end_amdgpu_metadata
